;; amdgpu-corpus repo=ROCm/rocFFT kind=compiled arch=gfx906 opt=O3
	.text
	.amdgcn_target "amdgcn-amd-amdhsa--gfx906"
	.amdhsa_code_object_version 6
	.protected	bluestein_single_fwd_len1782_dim1_dp_op_CI_CI ; -- Begin function bluestein_single_fwd_len1782_dim1_dp_op_CI_CI
	.globl	bluestein_single_fwd_len1782_dim1_dp_op_CI_CI
	.p2align	8
	.type	bluestein_single_fwd_len1782_dim1_dp_op_CI_CI,@function
bluestein_single_fwd_len1782_dim1_dp_op_CI_CI: ; @bluestein_single_fwd_len1782_dim1_dp_op_CI_CI
; %bb.0:
	s_load_dwordx4 s[8:11], s[4:5], 0x28
	s_mov_b64 s[46:47], s[2:3]
	v_mul_u32_u24_e32 v1, 0x296, v0
	s_mov_b64 s[44:45], s[0:1]
	v_add_u32_sdwa v4, s6, v1 dst_sel:DWORD dst_unused:UNUSED_PAD src0_sel:DWORD src1_sel:WORD_1
	v_mov_b32_e32 v5, 0
	s_add_u32 s44, s44, s7
	s_waitcnt lgkmcnt(0)
	v_cmp_gt_u64_e32 vcc, s[8:9], v[4:5]
	s_addc_u32 s45, s45, 0
	s_and_saveexec_b64 s[0:1], vcc
	s_cbranch_execz .LBB0_15
; %bb.1:
	s_load_dwordx4 s[0:3], s[4:5], 0x18
	v_mov_b32_e32 v5, v4
	s_waitcnt lgkmcnt(0)
	s_load_dwordx4 s[12:15], s[0:1], 0x0
	s_movk_i32 s0, 0x63
	v_mul_lo_u16_sdwa v1, v1, s0 dst_sel:DWORD dst_unused:UNUSED_PAD src0_sel:WORD_1 src1_sel:DWORD
	v_sub_u16_e32 v236, v0, v1
	buffer_store_dword v5, off, s[44:47], 0 offset:64 ; 4-byte Folded Spill
	s_nop 0
	buffer_store_dword v6, off, s[44:47], 0 offset:68 ; 4-byte Folded Spill
	s_waitcnt lgkmcnt(0)
	v_mad_u64_u32 v[0:1], s[0:1], s14, v4, 0
	v_mad_u64_u32 v[2:3], s[0:1], s12, v236, 0
	v_lshlrev_b32_e32 v94, 4, v236
	s_mul_i32 s6, s13, 0xa2
	v_mad_u64_u32 v[4:5], s[0:1], s15, v4, v[1:2]
	s_load_dwordx2 s[14:15], s[4:5], 0x0
	s_mul_hi_u32 s7, s12, 0xa2
	v_mad_u64_u32 v[5:6], s[0:1], s13, v236, v[3:4]
	v_mov_b32_e32 v1, v4
	v_lshlrev_b64 v[0:1], 4, v[0:1]
	v_mov_b32_e32 v6, s11
	v_mov_b32_e32 v3, v5
	v_add_co_u32_e32 v4, vcc, s10, v0
	v_addc_co_u32_e32 v5, vcc, v6, v1, vcc
	v_lshlrev_b64 v[0:1], 4, v[2:3]
	s_waitcnt lgkmcnt(0)
	v_mov_b32_e32 v2, s15
	v_add_co_u32_e32 v0, vcc, v4, v0
	v_add_co_u32_e64 v92, s[0:1], s14, v94
	s_add_i32 s7, s7, s6
	s_mul_i32 s6, s12, 0xa2
	v_addc_co_u32_e32 v1, vcc, v5, v1, vcc
	v_addc_co_u32_e64 v93, vcc, 0, v2, s[0:1]
	s_lshl_b64 s[16:17], s[6:7], 4
	v_mov_b32_e32 v13, s17
	v_add_co_u32_e32 v2, vcc, s16, v0
	v_addc_co_u32_e32 v3, vcc, v1, v13, vcc
	global_load_dwordx4 v[14:17], v[0:1], off
	global_load_dwordx4 v[18:21], v[2:3], off
	global_load_dwordx4 v[115:118], v94, s[14:15]
	global_load_dwordx4 v[99:102], v94, s[14:15] offset:2592
	v_add_co_u32_e32 v2, vcc, s16, v2
	v_addc_co_u32_e32 v3, vcc, v3, v13, vcc
	s_movk_i32 s6, 0x1000
	v_add_co_u32_e32 v0, vcc, s6, v92
	global_load_dwordx4 v[22:25], v[2:3], off
	v_addc_co_u32_e32 v1, vcc, 0, v93, vcc
	global_load_dwordx4 v[107:110], v[0:1], off offset:1088
	global_load_dwordx4 v[74:77], v[0:1], off offset:3680
	v_add_co_u32_e32 v2, vcc, s16, v2
	v_addc_co_u32_e32 v3, vcc, v3, v13, vcc
	v_add_co_u32_e32 v4, vcc, s16, v2
	v_addc_co_u32_e32 v5, vcc, v3, v13, vcc
	s_movk_i32 s6, 0x2000
	global_load_dwordx4 v[26:29], v[2:3], off
	global_load_dwordx4 v[30:33], v[4:5], off
	v_add_co_u32_e32 v2, vcc, s6, v92
	v_addc_co_u32_e32 v3, vcc, 0, v93, vcc
	v_add_co_u32_e32 v6, vcc, s16, v4
	v_addc_co_u32_e32 v7, vcc, v5, v13, vcc
	s_movk_i32 s6, 0x3000
	v_add_co_u32_e32 v4, vcc, s6, v92
	v_addc_co_u32_e32 v5, vcc, 0, v93, vcc
	global_load_dwordx4 v[34:37], v[6:7], off
	v_add_co_u32_e32 v6, vcc, s16, v6
	v_addc_co_u32_e32 v7, vcc, v7, v13, vcc
	v_add_co_u32_e32 v8, vcc, s16, v6
	v_addc_co_u32_e32 v9, vcc, v7, v13, vcc
	s_movk_i32 s6, 0x4000
	global_load_dwordx4 v[78:81], v[2:3], off offset:2176
	global_load_dwordx4 v[38:41], v[6:7], off
	global_load_dwordx4 v[111:114], v[4:5], off offset:672
	global_load_dwordx4 v[82:85], v[4:5], off offset:3264
	v_add_co_u32_e32 v6, vcc, s6, v92
	v_addc_co_u32_e32 v7, vcc, 0, v93, vcc
	v_add_co_u32_e32 v10, vcc, s16, v8
	v_addc_co_u32_e32 v11, vcc, v9, v13, vcc
	s_movk_i32 s6, 0x5000
	global_load_dwordx4 v[42:45], v[8:9], off
	v_add_co_u32_e32 v8, vcc, s6, v92
	v_addc_co_u32_e32 v9, vcc, 0, v93, vcc
	global_load_dwordx4 v[46:49], v[10:11], off
	v_add_co_u32_e32 v10, vcc, s16, v10
	v_addc_co_u32_e32 v11, vcc, v11, v13, vcc
	v_add_co_u32_e32 v12, vcc, s16, v10
	v_addc_co_u32_e32 v13, vcc, v11, v13, vcc
	s_movk_i32 s6, 0x6000
	global_load_dwordx4 v[86:89], v[6:7], off offset:1760
	global_load_dwordx4 v[50:53], v[10:11], off
	global_load_dwordx4 v[95:98], v[8:9], off offset:256
	global_load_dwordx4 v[70:73], v[8:9], off offset:2848
	v_add_co_u32_e32 v10, vcc, s6, v92
	v_addc_co_u32_e32 v11, vcc, 0, v93, vcc
	global_load_dwordx4 v[54:57], v[12:13], off
	global_load_dwordx4 v[103:106], v[10:11], off offset:1344
	s_waitcnt vmcnt(19)
	v_mul_f64 v[58:59], v[16:17], v[117:118]
	s_waitcnt vmcnt(18)
	v_mul_f64 v[62:63], v[20:21], v[101:102]
	v_mul_f64 v[60:61], v[14:15], v[117:118]
	;; [unrolled: 1-line block ×3, first 2 shown]
	v_cmp_gt_u16_e32 vcc, 63, v236
	v_fma_f64 v[14:15], v[14:15], v[115:116], v[58:59]
	buffer_store_dword v115, off, s[44:47], 0 offset:236 ; 4-byte Folded Spill
	s_nop 0
	buffer_store_dword v116, off, s[44:47], 0 offset:240 ; 4-byte Folded Spill
	buffer_store_dword v117, off, s[44:47], 0 offset:244 ; 4-byte Folded Spill
	;; [unrolled: 1-line block ×3, first 2 shown]
	v_fma_f64 v[18:19], v[18:19], v[99:100], v[62:63]
	s_waitcnt vmcnt(20)
	v_mul_f64 v[66:67], v[24:25], v[109:110]
	buffer_store_dword v99, off, s[44:47], 0 offset:172 ; 4-byte Folded Spill
	s_nop 0
	buffer_store_dword v100, off, s[44:47], 0 offset:176 ; 4-byte Folded Spill
	buffer_store_dword v101, off, s[44:47], 0 offset:180 ; 4-byte Folded Spill
	;; [unrolled: 1-line block ×3, first 2 shown]
	v_mul_f64 v[68:69], v[22:23], v[109:110]
	v_fma_f64 v[22:23], v[22:23], v[107:108], v[66:67]
	buffer_store_dword v107, off, s[44:47], 0 offset:204 ; 4-byte Folded Spill
	s_nop 0
	buffer_store_dword v108, off, s[44:47], 0 offset:208 ; 4-byte Folded Spill
	buffer_store_dword v109, off, s[44:47], 0 offset:212 ; 4-byte Folded Spill
	;; [unrolled: 1-line block ×3, first 2 shown]
	s_load_dwordx2 s[6:7], s[4:5], 0x38
	s_load_dwordx4 s[8:11], s[2:3], 0x0
	s_waitcnt vmcnt(20)
	v_mul_f64 v[58:59], v[40:41], v[84:85]
	v_fma_f64 v[16:17], v[16:17], v[115:116], -v[60:61]
	v_mul_f64 v[60:61], v[38:39], v[84:85]
	v_fma_f64 v[20:21], v[20:21], v[99:100], -v[64:65]
	v_fma_f64 v[24:25], v[24:25], v[107:108], -v[68:69]
	ds_write_b128 v94, v[14:17]
	ds_write_b128 v94, v[18:21] offset:2592
	ds_write_b128 v94, v[22:25] offset:5184
	v_mul_f64 v[14:15], v[28:29], v[76:77]
	v_mul_f64 v[18:19], v[32:33], v[80:81]
	;; [unrolled: 1-line block ×6, first 2 shown]
	v_fma_f64 v[14:15], v[26:27], v[74:75], v[14:15]
	buffer_store_dword v74, off, s[44:47], 0 offset:92 ; 4-byte Folded Spill
	s_nop 0
	buffer_store_dword v75, off, s[44:47], 0 offset:96 ; 4-byte Folded Spill
	buffer_store_dword v76, off, s[44:47], 0 offset:100 ; 4-byte Folded Spill
	buffer_store_dword v77, off, s[44:47], 0 offset:104 ; 4-byte Folded Spill
	v_fma_f64 v[18:19], v[30:31], v[78:79], v[18:19]
	buffer_store_dword v78, off, s[44:47], 0 offset:108 ; 4-byte Folded Spill
	s_nop 0
	buffer_store_dword v79, off, s[44:47], 0 offset:112 ; 4-byte Folded Spill
	buffer_store_dword v80, off, s[44:47], 0 offset:116 ; 4-byte Folded Spill
	buffer_store_dword v81, off, s[44:47], 0 offset:120 ; 4-byte Folded Spill
	;; [unrolled: 6-line block ×4, first 2 shown]
	s_waitcnt vmcnt(33)
	v_mul_f64 v[30:31], v[44:45], v[88:89]
	s_waitcnt vmcnt(31)
	v_mul_f64 v[34:35], v[48:49], v[97:98]
	;; [unrolled: 2-line block ×4, first 2 shown]
	v_fma_f64 v[30:31], v[42:43], v[86:87], v[30:31]
	v_fma_f64 v[34:35], v[46:47], v[95:96], v[34:35]
	;; [unrolled: 1-line block ×3, first 2 shown]
	v_fma_f64 v[16:17], v[28:29], v[74:75], -v[16:17]
	v_fma_f64 v[20:21], v[32:33], v[78:79], -v[20:21]
	v_mul_f64 v[32:33], v[42:43], v[88:89]
	buffer_store_dword v86, off, s[44:47], 0 offset:140 ; 4-byte Folded Spill
	s_nop 0
	buffer_store_dword v87, off, s[44:47], 0 offset:144 ; 4-byte Folded Spill
	buffer_store_dword v88, off, s[44:47], 0 offset:148 ; 4-byte Folded Spill
	buffer_store_dword v89, off, s[44:47], 0 offset:152 ; 4-byte Folded Spill
	v_fma_f64 v[24:25], v[36:37], v[111:112], -v[24:25]
	v_mul_f64 v[36:37], v[46:47], v[97:98]
	buffer_store_dword v95, off, s[44:47], 0 offset:156 ; 4-byte Folded Spill
	s_nop 0
	buffer_store_dword v96, off, s[44:47], 0 offset:160 ; 4-byte Folded Spill
	buffer_store_dword v97, off, s[44:47], 0 offset:164 ; 4-byte Folded Spill
	buffer_store_dword v98, off, s[44:47], 0 offset:168 ; 4-byte Folded Spill
	;; [unrolled: 7-line block ×3, first 2 shown]
	v_mul_f64 v[60:61], v[54:55], v[105:106]
	v_fma_f64 v[42:43], v[54:55], v[103:104], v[58:59]
	buffer_store_dword v103, off, s[44:47], 0 offset:188 ; 4-byte Folded Spill
	s_nop 0
	buffer_store_dword v104, off, s[44:47], 0 offset:192 ; 4-byte Folded Spill
	buffer_store_dword v105, off, s[44:47], 0 offset:196 ; 4-byte Folded Spill
	;; [unrolled: 1-line block ×3, first 2 shown]
	v_fma_f64 v[32:33], v[44:45], v[86:87], -v[32:33]
	v_fma_f64 v[36:37], v[48:49], v[95:96], -v[36:37]
	;; [unrolled: 1-line block ×4, first 2 shown]
	ds_write_b128 v94, v[14:17] offset:7776
	ds_write_b128 v94, v[18:21] offset:10368
	;; [unrolled: 1-line block ×8, first 2 shown]
	s_and_saveexec_b64 s[18:19], vcc
	s_cbranch_execz .LBB0_3
; %bb.2:
	v_mov_b32_e32 v14, 0xffffa0f0
	v_mad_u64_u32 v[16:17], s[2:3], s12, v14, v[12:13]
	s_mul_i32 s2, s13, 0xffffa0f0
	s_sub_i32 s2, s2, s12
	v_add_u32_e32 v17, s2, v17
	v_mov_b32_e32 v85, s17
	v_add_co_u32_e64 v28, s[2:3], s16, v16
	v_addc_co_u32_e64 v29, s[2:3], v17, v85, s[2:3]
	v_add_co_u32_e64 v32, s[2:3], s16, v28
	global_load_dwordx4 v[12:15], v[16:17], off
	v_addc_co_u32_e64 v33, s[2:3], v29, v85, s[2:3]
	global_load_dwordx4 v[16:19], v[28:29], off
	global_load_dwordx4 v[20:23], v[92:93], off offset:1584
	global_load_dwordx4 v[24:27], v[0:1], off offset:80
	v_add_co_u32_e64 v44, s[2:3], s16, v32
	global_load_dwordx4 v[28:31], v[32:33], off
	v_addc_co_u32_e64 v45, s[2:3], v33, v85, s[2:3]
	global_load_dwordx4 v[32:35], v[44:45], off
	global_load_dwordx4 v[36:39], v[0:1], off offset:2672
	global_load_dwordx4 v[40:43], v[2:3], off offset:1168
	v_add_co_u32_e64 v0, s[2:3], s16, v44
	v_addc_co_u32_e64 v1, s[2:3], v45, v85, s[2:3]
	global_load_dwordx4 v[44:47], v[0:1], off
	v_add_co_u32_e64 v0, s[2:3], s16, v0
	v_addc_co_u32_e64 v1, s[2:3], v1, v85, s[2:3]
	global_load_dwordx4 v[48:51], v[0:1], off
	global_load_dwordx4 v[52:55], v[2:3], off offset:3760
	global_load_dwordx4 v[56:59], v[4:5], off offset:2256
	v_add_co_u32_e64 v4, s[2:3], s16, v0
	v_addc_co_u32_e64 v5, s[2:3], v1, v85, s[2:3]
	global_load_dwordx4 v[0:3], v[4:5], off
	v_add_co_u32_e64 v4, s[2:3], s16, v4
	v_addc_co_u32_e64 v5, s[2:3], v5, v85, s[2:3]
	v_add_co_u32_e64 v76, s[2:3], s16, v4
	v_addc_co_u32_e64 v77, s[2:3], v5, v85, s[2:3]
	global_load_dwordx4 v[60:63], v[4:5], off
	global_load_dwordx4 v[64:67], v[6:7], off offset:752
	global_load_dwordx4 v[68:71], v[6:7], off offset:3344
	s_nop 0
	global_load_dwordx4 v[4:7], v[76:77], off
	global_load_dwordx4 v[72:75], v[8:9], off offset:1840
	v_add_co_u32_e64 v8, s[2:3], s16, v76
	v_addc_co_u32_e64 v9, s[2:3], v77, v85, s[2:3]
	v_add_co_u32_e64 v84, s[2:3], s16, v8
	global_load_dwordx4 v[76:79], v[8:9], off
	global_load_dwordx4 v[80:83], v[10:11], off offset:336
	v_addc_co_u32_e64 v85, s[2:3], v9, v85, s[2:3]
	global_load_dwordx4 v[8:11], v[10:11], off offset:2928
	s_nop 0
	global_load_dwordx4 v[84:87], v[84:85], off
	s_waitcnt vmcnt(19)
	v_mul_f64 v[88:89], v[14:15], v[22:23]
	v_mul_f64 v[22:23], v[12:13], v[22:23]
	s_waitcnt vmcnt(18)
	v_mul_f64 v[90:91], v[18:19], v[26:27]
	v_mul_f64 v[26:27], v[16:17], v[26:27]
	;; [unrolled: 3-line block ×3, first 2 shown]
	v_fma_f64 v[12:13], v[12:13], v[20:21], v[88:89]
	v_fma_f64 v[14:15], v[14:15], v[20:21], -v[22:23]
	v_fma_f64 v[16:17], v[16:17], v[24:25], v[90:91]
	v_fma_f64 v[18:19], v[18:19], v[24:25], -v[26:27]
	s_waitcnt vmcnt(14)
	v_mul_f64 v[97:98], v[34:35], v[42:43]
	v_mul_f64 v[42:43], v[32:33], v[42:43]
	v_fma_f64 v[20:21], v[28:29], v[36:37], v[95:96]
	v_fma_f64 v[22:23], v[30:31], v[36:37], -v[38:39]
	s_waitcnt vmcnt(11)
	v_mul_f64 v[99:100], v[46:47], v[54:55]
	v_mul_f64 v[54:55], v[44:45], v[54:55]
	s_waitcnt vmcnt(10)
	v_mul_f64 v[101:102], v[50:51], v[58:59]
	v_mul_f64 v[58:59], v[48:49], v[58:59]
	ds_write_b128 v94, v[12:15] offset:1584
	ds_write_b128 v94, v[16:19] offset:4176
	;; [unrolled: 1-line block ×3, first 2 shown]
	v_fma_f64 v[24:25], v[32:33], v[40:41], v[97:98]
	v_fma_f64 v[26:27], v[34:35], v[40:41], -v[42:43]
	v_fma_f64 v[28:29], v[44:45], v[52:53], v[99:100]
	v_fma_f64 v[30:31], v[46:47], v[52:53], -v[54:55]
	;; [unrolled: 2-line block ×3, first 2 shown]
	s_waitcnt vmcnt(7)
	v_mul_f64 v[103:104], v[2:3], v[66:67]
	v_mul_f64 v[66:67], v[0:1], v[66:67]
	s_waitcnt vmcnt(6)
	v_mul_f64 v[105:106], v[62:63], v[70:71]
	v_mul_f64 v[70:71], v[60:61], v[70:71]
	;; [unrolled: 3-line block ×3, first 2 shown]
	v_fma_f64 v[0:1], v[0:1], v[64:65], v[103:104]
	s_waitcnt vmcnt(2)
	v_mul_f64 v[90:91], v[78:79], v[82:83]
	v_mul_f64 v[16:17], v[76:77], v[82:83]
	v_fma_f64 v[2:3], v[2:3], v[64:65], -v[66:67]
	s_waitcnt vmcnt(0)
	v_mul_f64 v[18:19], v[86:87], v[10:11]
	v_mul_f64 v[20:21], v[84:85], v[10:11]
	v_fma_f64 v[10:11], v[60:61], v[68:69], v[105:106]
	v_fma_f64 v[12:13], v[62:63], v[68:69], -v[70:71]
	v_fma_f64 v[4:5], v[4:5], v[72:73], v[88:89]
	v_fma_f64 v[6:7], v[6:7], v[72:73], -v[74:75]
	;; [unrolled: 2-line block ×4, first 2 shown]
	ds_write_b128 v94, v[24:27] offset:9360
	ds_write_b128 v94, v[28:31] offset:11952
	;; [unrolled: 1-line block ×8, first 2 shown]
.LBB0_3:
	s_or_b64 exec, exec, s[18:19]
	s_waitcnt vmcnt(0) lgkmcnt(0)
	s_barrier
	ds_read_b128 v[80:83], v94
	ds_read_b128 v[84:87], v94 offset:2592
	ds_read_b128 v[52:55], v94 offset:5184
	;; [unrolled: 1-line block ×10, first 2 shown]
	s_load_dwordx2 s[4:5], s[4:5], 0x8
                                        ; implicit-def: $vgpr0_vgpr1
                                        ; implicit-def: $vgpr4_vgpr5
                                        ; implicit-def: $vgpr8_vgpr9
                                        ; implicit-def: $vgpr12_vgpr13
                                        ; implicit-def: $vgpr16_vgpr17
                                        ; implicit-def: $vgpr20_vgpr21
                                        ; implicit-def: $vgpr24_vgpr25
                                        ; implicit-def: $vgpr60_vgpr61
                                        ; implicit-def: $vgpr64_vgpr65
                                        ; implicit-def: $vgpr68_vgpr69
                                        ; implicit-def: $vgpr72_vgpr73
	s_and_saveexec_b64 s[2:3], vcc
	s_cbranch_execz .LBB0_5
; %bb.4:
	ds_read_b128 v[0:3], v94 offset:1584
	ds_read_b128 v[4:7], v94 offset:4176
	;; [unrolled: 1-line block ×11, first 2 shown]
.LBB0_5:
	s_or_b64 exec, exec, s[2:3]
	s_waitcnt lgkmcnt(0)
	v_add_f64 v[76:77], v[80:81], v[84:85]
	v_add_f64 v[78:79], v[82:83], v[86:87]
	s_mov_b32 s20, 0xf8bb580b
	s_mov_b32 s22, 0x8eee2c13
	s_mov_b32 s18, 0x43842ef
	s_mov_b32 s26, 0xbb3a28a1
	s_mov_b32 s30, 0xfd768dbf
	s_mov_b32 s21, 0xbfe14ced
	v_add_f64 v[76:77], v[76:77], v[52:53]
	v_add_f64 v[78:79], v[78:79], v[54:55]
	s_mov_b32 s23, 0xbfed1bb4
	s_mov_b32 s19, 0xbfefac9e
	;; [unrolled: 1-line block ×4, first 2 shown]
	s_movk_i32 s14, 0x63
	v_add_co_u32_e64 v215, s[2:3], s14, v236
	v_add_f64 v[76:77], v[76:77], v[36:37]
	v_add_f64 v[78:79], v[78:79], v[38:39]
	s_mov_b32 s12, 0x8764f0ba
	s_mov_b32 s2, 0xd9c712b6
	s_mov_b32 s16, 0x640f44db
	s_mov_b32 s24, 0x7f775887
	s_mov_b32 s28, 0x9bcd5057
	s_mov_b32 s13, 0x3feaeb8c
	v_add_f64 v[76:77], v[76:77], v[28:29]
	v_add_f64 v[78:79], v[78:79], v[30:31]
	s_mov_b32 s3, 0x3fda9628
	s_mov_b32 s17, 0xbfc2375f
	s_mov_b32 s25, 0xbfe4f49e
	s_mov_b32 s29, 0xbfeeb42a
	s_mov_b32 s37, 0x3fd207e7
	s_mov_b32 s36, s30
	;; [unrolled: 8-line block ×3, first 2 shown]
	v_add_f64 v[76:77], v[76:77], v[48:49]
	v_add_f64 v[78:79], v[78:79], v[50:51]
	v_add_f64 v[133:134], v[6:7], -v[74:75]
	v_add_f64 v[159:160], v[10:11], -v[70:71]
	v_add_f64 v[129:130], v[8:9], v[68:69]
	v_add_f64 v[139:140], v[8:9], -v[68:69]
	v_add_f64 v[157:158], v[10:11], v[70:71]
	;; [unrolled: 2-line block ×3, first 2 shown]
	v_add_f64 v[78:79], v[78:79], v[34:35]
	v_add_f64 v[149:150], v[12:13], v[64:65]
	v_mul_f64 v[147:148], v[159:160], s[34:35]
	v_add_f64 v[165:166], v[12:13], -v[64:65]
	v_mul_f64 v[153:154], v[139:140], s[34:35]
	v_add_f64 v[177:178], v[14:15], v[66:67]
	v_mul_f64 v[171:172], v[185:186], s[20:21]
	v_add_f64 v[76:77], v[76:77], v[40:41]
	v_add_f64 v[78:79], v[78:79], v[42:43]
	v_add_f64 v[189:190], v[18:19], -v[62:63]
	v_add_f64 v[175:176], v[16:17], v[60:61]
	v_mul_f64 v[183:184], v[165:166], s[20:21]
	v_add_f64 v[179:180], v[16:17], -v[60:61]
	v_add_f64 v[195:196], v[18:19], v[62:63]
	v_add_f64 v[205:206], v[22:23], -v[26:27]
	v_add_f64 v[76:77], v[76:77], v[56:57]
	v_add_f64 v[78:79], v[78:79], v[58:59]
	v_mul_f64 v[193:194], v[189:190], s[30:31]
	v_add_f64 v[197:198], v[20:21], v[24:25]
	v_add_f64 v[201:202], v[20:21], -v[24:25]
	v_mul_f64 v[199:200], v[179:180], s[30:31]
	v_add_f64 v[203:204], v[22:23], v[26:27]
	v_add_f64 v[211:212], v[76:77], v[88:89]
	v_add_f64 v[76:77], v[84:85], v[88:89]
	v_add_f64 v[84:85], v[84:85], -v[88:89]
	v_add_f64 v[213:214], v[78:79], v[90:91]
	v_add_f64 v[78:79], v[86:87], v[90:91]
	v_add_f64 v[86:87], v[86:87], -v[90:91]
	v_mul_f64 v[95:96], v[84:85], s[20:21]
	v_mul_f64 v[103:104], v[84:85], s[22:23]
	v_mul_f64 v[111:112], v[84:85], s[18:19]
	v_mul_f64 v[119:120], v[84:85], s[26:27]
	v_mul_f64 v[84:85], v[84:85], s[30:31]
	v_mul_f64 v[88:89], v[86:87], s[20:21]
	v_mul_f64 v[99:100], v[86:87], s[22:23]
	v_mul_f64 v[107:108], v[86:87], s[18:19]
	v_fma_f64 v[97:98], v[78:79], s[12:13], v[95:96]
	v_fma_f64 v[95:96], v[78:79], s[12:13], -v[95:96]
	v_fma_f64 v[105:106], v[78:79], s[2:3], v[103:104]
	v_fma_f64 v[103:104], v[78:79], s[2:3], -v[103:104]
	;; [unrolled: 2-line block ×3, first 2 shown]
	v_mul_f64 v[115:116], v[86:87], s[26:27]
	v_fma_f64 v[121:122], v[78:79], s[24:25], v[119:120]
	v_fma_f64 v[119:120], v[78:79], s[24:25], -v[119:120]
	v_mul_f64 v[86:87], v[86:87], s[30:31]
	v_fma_f64 v[125:126], v[78:79], s[28:29], v[84:85]
	v_fma_f64 v[78:79], v[78:79], s[28:29], -v[84:85]
	v_fma_f64 v[90:91], v[76:77], s[12:13], -v[88:89]
	v_add_f64 v[97:98], v[82:83], v[97:98]
	v_fma_f64 v[88:89], v[76:77], s[12:13], v[88:89]
	v_add_f64 v[95:96], v[82:83], v[95:96]
	v_fma_f64 v[101:102], v[76:77], s[2:3], -v[99:100]
	v_add_f64 v[105:106], v[82:83], v[105:106]
	v_fma_f64 v[99:100], v[76:77], s[2:3], v[99:100]
	v_add_f64 v[103:104], v[82:83], v[103:104]
	;; [unrolled: 4-line block ×5, first 2 shown]
	v_add_f64 v[82:83], v[54:55], v[58:59]
	v_add_f64 v[54:55], v[54:55], -v[58:59]
	v_add_f64 v[90:91], v[80:81], v[90:91]
	v_add_f64 v[88:89], v[80:81], v[88:89]
	v_add_f64 v[101:102], v[80:81], v[101:102]
	v_add_f64 v[99:100], v[80:81], v[99:100]
	v_add_f64 v[109:110], v[80:81], v[109:110]
	v_add_f64 v[107:108], v[80:81], v[107:108]
	v_add_f64 v[117:118], v[80:81], v[117:118]
	v_add_f64 v[115:116], v[80:81], v[115:116]
	v_add_f64 v[123:124], v[80:81], v[123:124]
	v_add_f64 v[76:77], v[80:81], v[76:77]
	v_add_f64 v[80:81], v[52:53], v[56:57]
	v_add_f64 v[52:53], v[52:53], -v[56:57]
	v_mul_f64 v[56:57], v[54:55], s[22:23]
	v_mul_f64 v[84:85], v[52:53], s[22:23]
	v_fma_f64 v[58:59], v[80:81], s[2:3], -v[56:57]
	v_fma_f64 v[56:57], v[80:81], s[2:3], v[56:57]
	v_fma_f64 v[86:87], v[82:83], s[2:3], v[84:85]
	v_fma_f64 v[84:85], v[82:83], s[2:3], -v[84:85]
	v_add_f64 v[56:57], v[56:57], v[88:89]
	v_mul_f64 v[88:89], v[54:55], s[26:27]
	v_add_f64 v[58:59], v[58:59], v[90:91]
	v_add_f64 v[86:87], v[86:87], v[97:98]
	;; [unrolled: 1-line block ×3, first 2 shown]
	v_mul_f64 v[95:96], v[52:53], s[26:27]
	v_fma_f64 v[90:91], v[80:81], s[24:25], -v[88:89]
	v_fma_f64 v[88:89], v[80:81], s[24:25], v[88:89]
	v_fma_f64 v[97:98], v[82:83], s[24:25], v[95:96]
	v_fma_f64 v[95:96], v[82:83], s[24:25], -v[95:96]
	v_add_f64 v[88:89], v[88:89], v[99:100]
	v_mul_f64 v[99:100], v[54:55], s[36:37]
	v_add_f64 v[90:91], v[90:91], v[101:102]
	v_add_f64 v[97:98], v[97:98], v[105:106]
	;; [unrolled: 1-line block ×3, first 2 shown]
	v_mul_f64 v[103:104], v[52:53], s[36:37]
	v_fma_f64 v[101:102], v[80:81], s[28:29], -v[99:100]
	v_fma_f64 v[99:100], v[80:81], s[28:29], v[99:100]
	v_fma_f64 v[105:106], v[82:83], s[28:29], v[103:104]
	v_fma_f64 v[103:104], v[82:83], s[28:29], -v[103:104]
	v_add_f64 v[99:100], v[99:100], v[107:108]
	v_mul_f64 v[107:108], v[54:55], s[34:35]
	v_add_f64 v[101:102], v[101:102], v[109:110]
	v_mul_f64 v[54:55], v[54:55], s[38:39]
	v_add_f64 v[105:106], v[105:106], v[113:114]
	v_add_f64 v[103:104], v[103:104], v[111:112]
	v_mul_f64 v[111:112], v[52:53], s[34:35]
	v_fma_f64 v[109:110], v[80:81], s[16:17], -v[107:108]
	v_mul_f64 v[52:53], v[52:53], s[38:39]
	v_fma_f64 v[107:108], v[80:81], s[16:17], v[107:108]
	v_fma_f64 v[113:114], v[82:83], s[16:17], v[111:112]
	v_add_f64 v[109:110], v[109:110], v[117:118]
	v_fma_f64 v[117:118], v[82:83], s[12:13], v[52:53]
	v_fma_f64 v[52:53], v[82:83], s[12:13], -v[52:53]
	v_add_f64 v[107:108], v[107:108], v[115:116]
	v_fma_f64 v[115:116], v[80:81], s[12:13], -v[54:55]
	v_fma_f64 v[54:55], v[80:81], s[12:13], v[54:55]
	v_fma_f64 v[111:112], v[82:83], s[16:17], -v[111:112]
	v_add_f64 v[113:114], v[113:114], v[121:122]
	v_mul_f64 v[121:122], v[133:134], s[26:27]
	v_add_f64 v[117:118], v[117:118], v[125:126]
	v_add_f64 v[52:53], v[52:53], v[78:79]
	;; [unrolled: 1-line block ×3, first 2 shown]
	v_add_f64 v[38:39], v[38:39], -v[42:43]
	v_add_f64 v[54:55], v[54:55], v[76:77]
	v_add_f64 v[76:77], v[36:37], v[40:41]
	v_add_f64 v[36:37], v[36:37], -v[40:41]
	v_add_f64 v[111:112], v[111:112], v[119:120]
	v_add_f64 v[115:116], v[115:116], v[123:124]
	;; [unrolled: 1-line block ×3, first 2 shown]
	v_mul_f64 v[40:41], v[38:39], s[18:19]
	v_fma_f64 v[42:43], v[76:77], s[16:17], -v[40:41]
	v_fma_f64 v[40:41], v[76:77], s[16:17], v[40:41]
	v_add_f64 v[42:43], v[42:43], v[58:59]
	v_mul_f64 v[58:59], v[36:37], s[18:19]
	v_add_f64 v[40:41], v[40:41], v[56:57]
	v_fma_f64 v[80:81], v[78:79], s[16:17], v[58:59]
	v_fma_f64 v[56:57], v[78:79], s[16:17], -v[58:59]
	v_mul_f64 v[58:59], v[38:39], s[36:37]
	v_add_f64 v[80:81], v[80:81], v[86:87]
	v_add_f64 v[56:57], v[56:57], v[84:85]
	v_fma_f64 v[82:83], v[76:77], s[28:29], -v[58:59]
	v_fma_f64 v[58:59], v[76:77], s[28:29], v[58:59]
	v_mul_f64 v[84:85], v[36:37], s[36:37]
	v_add_f64 v[82:83], v[82:83], v[90:91]
	v_add_f64 v[58:59], v[58:59], v[88:89]
	v_mul_f64 v[88:89], v[38:39], s[40:41]
	v_fma_f64 v[86:87], v[78:79], s[28:29], v[84:85]
	v_fma_f64 v[84:85], v[78:79], s[28:29], -v[84:85]
	v_fma_f64 v[90:91], v[76:77], s[2:3], -v[88:89]
	v_fma_f64 v[88:89], v[76:77], s[2:3], v[88:89]
	v_add_f64 v[84:85], v[84:85], v[95:96]
	v_mul_f64 v[95:96], v[36:37], s[40:41]
	v_add_f64 v[86:87], v[86:87], v[97:98]
	v_add_f64 v[90:91], v[90:91], v[101:102]
	;; [unrolled: 1-line block ×3, first 2 shown]
	v_mul_f64 v[99:100], v[38:39], s[20:21]
	v_fma_f64 v[97:98], v[78:79], s[2:3], v[95:96]
	v_fma_f64 v[95:96], v[78:79], s[2:3], -v[95:96]
	v_mul_f64 v[38:39], v[38:39], s[26:27]
	v_fma_f64 v[101:102], v[76:77], s[12:13], -v[99:100]
	v_fma_f64 v[99:100], v[76:77], s[12:13], v[99:100]
	v_add_f64 v[95:96], v[95:96], v[103:104]
	v_mul_f64 v[103:104], v[36:37], s[20:21]
	v_mul_f64 v[36:37], v[36:37], s[26:27]
	v_add_f64 v[97:98], v[97:98], v[105:106]
	v_add_f64 v[101:102], v[101:102], v[109:110]
	;; [unrolled: 1-line block ×3, first 2 shown]
	v_fma_f64 v[107:108], v[76:77], s[24:25], -v[38:39]
	v_fma_f64 v[38:39], v[76:77], s[24:25], v[38:39]
	v_fma_f64 v[109:110], v[78:79], s[24:25], v[36:37]
	v_fma_f64 v[36:37], v[78:79], s[24:25], -v[36:37]
	v_fma_f64 v[105:106], v[78:79], s[12:13], v[103:104]
	v_fma_f64 v[103:104], v[78:79], s[12:13], -v[103:104]
	v_add_f64 v[107:108], v[107:108], v[115:116]
	v_add_f64 v[38:39], v[38:39], v[54:55]
	;; [unrolled: 1-line block ×3, first 2 shown]
	v_add_f64 v[30:31], v[30:31], -v[34:35]
	v_add_f64 v[36:37], v[36:37], v[52:53]
	v_add_f64 v[52:53], v[28:29], v[32:33]
	v_add_f64 v[28:29], v[28:29], -v[32:33]
	v_add_f64 v[103:104], v[103:104], v[111:112]
	v_add_f64 v[109:110], v[109:110], v[117:118]
	v_add_f64 v[115:116], v[46:47], -v[50:51]
	v_add_f64 v[105:106], v[105:106], v[113:114]
	v_mul_f64 v[32:33], v[30:31], s[26:27]
	v_add_f64 v[113:114], v[44:45], -v[48:49]
	v_add_f64 v[111:112], v[46:47], v[50:51]
	v_mul_f64 v[78:79], v[28:29], s[34:35]
	v_fma_f64 v[34:35], v[52:53], s[24:25], -v[32:33]
	v_fma_f64 v[32:33], v[52:53], s[24:25], v[32:33]
	v_add_f64 v[34:35], v[34:35], v[42:43]
	v_mul_f64 v[42:43], v[28:29], s[26:27]
	v_add_f64 v[40:41], v[32:33], v[40:41]
	v_fma_f64 v[32:33], v[54:55], s[24:25], -v[42:43]
	v_fma_f64 v[76:77], v[54:55], s[24:25], v[42:43]
	v_add_f64 v[42:43], v[32:33], v[56:57]
	v_mul_f64 v[32:33], v[30:31], s[34:35]
	v_add_f64 v[76:77], v[76:77], v[80:81]
	v_fma_f64 v[80:81], v[54:55], s[16:17], v[78:79]
	v_fma_f64 v[56:57], v[52:53], s[16:17], -v[32:33]
	v_fma_f64 v[32:33], v[52:53], s[16:17], v[32:33]
	v_add_f64 v[80:81], v[80:81], v[86:87]
	v_add_f64 v[56:57], v[56:57], v[82:83]
	;; [unrolled: 1-line block ×3, first 2 shown]
	v_fma_f64 v[32:33], v[54:55], s[16:17], -v[78:79]
	v_add_f64 v[78:79], v[32:33], v[84:85]
	v_mul_f64 v[32:33], v[30:31], s[20:21]
	v_mul_f64 v[84:85], v[28:29], s[20:21]
	v_fma_f64 v[82:83], v[52:53], s[12:13], -v[32:33]
	v_fma_f64 v[32:33], v[52:53], s[12:13], v[32:33]
	v_fma_f64 v[86:87], v[54:55], s[12:13], v[84:85]
	v_add_f64 v[82:83], v[82:83], v[90:91]
	v_add_f64 v[88:89], v[32:33], v[88:89]
	v_fma_f64 v[32:33], v[54:55], s[12:13], -v[84:85]
	v_add_f64 v[86:87], v[86:87], v[97:98]
	v_add_f64 v[84:85], v[32:33], v[95:96]
	v_mul_f64 v[32:33], v[30:31], s[30:31]
	v_mul_f64 v[95:96], v[28:29], s[30:31]
	;; [unrolled: 1-line block ×4, first 2 shown]
	v_fma_f64 v[90:91], v[52:53], s[28:29], -v[32:33]
	v_fma_f64 v[32:33], v[52:53], s[28:29], v[32:33]
	v_fma_f64 v[97:98], v[54:55], s[28:29], v[95:96]
	v_add_f64 v[90:91], v[90:91], v[101:102]
	v_add_f64 v[99:100], v[32:33], v[99:100]
	v_fma_f64 v[32:33], v[54:55], s[28:29], -v[95:96]
	v_add_f64 v[97:98], v[97:98], v[105:106]
	v_add_f64 v[95:96], v[32:33], v[103:104]
	v_fma_f64 v[32:33], v[52:53], s[2:3], -v[30:31]
	v_fma_f64 v[30:31], v[52:53], s[2:3], v[30:31]
	v_add_f64 v[101:102], v[32:33], v[107:108]
	v_fma_f64 v[32:33], v[54:55], s[2:3], v[28:29]
	v_fma_f64 v[28:29], v[54:55], s[2:3], -v[28:29]
	v_add_f64 v[105:106], v[30:31], v[38:39]
	v_add_f64 v[103:104], v[32:33], v[109:110]
	;; [unrolled: 1-line block ×4, first 2 shown]
	v_mul_f64 v[28:29], v[115:116], s[30:31]
	v_mul_f64 v[36:37], v[115:116], s[38:39]
	;; [unrolled: 1-line block ×3, first 2 shown]
	v_fma_f64 v[30:31], v[109:110], s[28:29], -v[28:29]
	v_fma_f64 v[28:29], v[109:110], s[28:29], v[28:29]
	v_fma_f64 v[38:39], v[109:110], s[12:13], -v[36:37]
	v_fma_f64 v[46:47], v[109:110], s[24:25], -v[44:45]
	v_fma_f64 v[36:37], v[109:110], s[12:13], v[36:37]
	v_fma_f64 v[44:45], v[109:110], s[24:25], v[44:45]
	v_add_f64 v[32:33], v[30:31], v[34:35]
	v_mul_f64 v[30:31], v[113:114], s[30:31]
	v_add_f64 v[28:29], v[28:29], v[40:41]
	v_add_f64 v[40:41], v[38:39], v[56:57]
	v_mul_f64 v[38:39], v[113:114], s[38:39]
	v_add_f64 v[48:49], v[46:47], v[82:83]
	v_mul_f64 v[46:47], v[113:114], s[26:27]
	v_add_f64 v[36:37], v[36:37], v[58:59]
	v_mul_f64 v[58:59], v[113:114], s[40:41]
	v_fma_f64 v[34:35], v[111:112], s[28:29], v[30:31]
	v_fma_f64 v[30:31], v[111:112], s[28:29], -v[30:31]
	v_mul_f64 v[56:57], v[115:116], s[40:41]
	v_add_f64 v[44:45], v[44:45], v[88:89]
	v_mul_f64 v[88:89], v[133:134], s[20:21]
	v_fma_f64 v[50:51], v[111:112], s[24:25], v[46:47]
	v_fma_f64 v[46:47], v[111:112], s[24:25], -v[46:47]
	v_fma_f64 v[54:55], v[111:112], s[2:3], v[58:59]
	v_add_f64 v[34:35], v[34:35], v[76:77]
	v_add_f64 v[30:31], v[30:31], v[42:43]
	v_fma_f64 v[42:43], v[111:112], s[12:13], v[38:39]
	v_fma_f64 v[38:39], v[111:112], s[12:13], -v[38:39]
	v_mul_f64 v[76:77], v[115:116], s[18:19]
	v_fma_f64 v[58:59], v[111:112], s[2:3], -v[58:59]
	v_add_f64 v[46:47], v[46:47], v[84:85]
	v_add_f64 v[50:51], v[50:51], v[86:87]
	;; [unrolled: 1-line block ×3, first 2 shown]
	v_fma_f64 v[52:53], v[109:110], s[2:3], -v[56:57]
	v_add_f64 v[42:43], v[42:43], v[80:81]
	v_add_f64 v[38:39], v[38:39], v[78:79]
	v_fma_f64 v[78:79], v[109:110], s[16:17], -v[76:77]
	v_fma_f64 v[76:77], v[109:110], s[16:17], v[76:77]
	v_add_f64 v[58:59], v[58:59], v[95:96]
	v_mul_f64 v[95:96], v[133:134], s[22:23]
	v_fma_f64 v[56:57], v[109:110], s[2:3], v[56:57]
	v_add_f64 v[52:53], v[52:53], v[90:91]
	v_mul_f64 v[109:110], v[139:140], s[26:27]
	v_add_f64 v[84:85], v[78:79], v[101:102]
	v_mul_f64 v[78:79], v[113:114], s[18:19]
	v_add_f64 v[113:114], v[4:5], -v[72:73]
	v_add_f64 v[56:57], v[56:57], v[99:100]
	v_fma_f64 v[80:81], v[111:112], s[16:17], v[78:79]
	v_mul_f64 v[101:102], v[113:114], s[22:23]
	v_mul_f64 v[127:128], v[113:114], s[26:27]
	v_mul_f64 v[90:91], v[113:114], s[20:21]
	v_add_f64 v[86:87], v[80:81], v[103:104]
	v_add_f64 v[80:81], v[76:77], v[105:106]
	;; [unrolled: 1-line block ×3, first 2 shown]
	v_fma_f64 v[76:77], v[111:112], s[16:17], -v[78:79]
	v_mul_f64 v[111:112], v[113:114], s[18:19]
	v_fma_f64 v[78:79], v[125:126], s[12:13], -v[90:91]
	v_mul_f64 v[103:104], v[139:140], s[22:23]
	v_fma_f64 v[97:98], v[105:106], s[2:3], v[95:96]
	v_add_f64 v[82:83], v[76:77], v[107:108]
	v_fma_f64 v[76:77], v[105:106], s[12:13], v[88:89]
	v_add_f64 v[78:79], v[2:3], v[78:79]
	v_add_f64 v[115:116], v[0:1], v[97:98]
	v_fma_f64 v[97:98], v[125:126], s[2:3], -v[101:102]
	v_add_f64 v[76:77], v[0:1], v[76:77]
	v_add_f64 v[117:118], v[2:3], v[97:98]
	v_mul_f64 v[97:98], v[133:134], s[18:19]
	v_fma_f64 v[99:100], v[105:106], s[16:17], v[97:98]
	v_add_f64 v[119:120], v[0:1], v[99:100]
	v_fma_f64 v[99:100], v[125:126], s[16:17], -v[111:112]
	v_add_f64 v[123:124], v[2:3], v[99:100]
	v_fma_f64 v[99:100], v[105:106], s[24:25], v[121:122]
	v_add_f64 v[131:132], v[0:1], v[99:100]
	v_fma_f64 v[99:100], v[125:126], s[24:25], -v[127:128]
	v_add_f64 v[137:138], v[2:3], v[99:100]
	v_mul_f64 v[99:100], v[159:160], s[22:23]
	v_fma_f64 v[107:108], v[129:130], s[2:3], v[99:100]
	v_add_f64 v[76:77], v[107:108], v[76:77]
	v_fma_f64 v[107:108], v[157:158], s[2:3], -v[103:104]
	v_add_f64 v[78:79], v[107:108], v[78:79]
	v_mul_f64 v[107:108], v[159:160], s[26:27]
	v_fma_f64 v[135:136], v[129:130], s[24:25], v[107:108]
	v_add_f64 v[141:142], v[135:136], v[115:116]
	v_fma_f64 v[115:116], v[157:158], s[24:25], -v[109:110]
	v_mul_f64 v[135:136], v[139:140], s[36:37]
	v_add_f64 v[143:144], v[115:116], v[117:118]
	v_mul_f64 v[115:116], v[159:160], s[36:37]
	v_fma_f64 v[117:118], v[129:130], s[28:29], v[115:116]
	v_add_f64 v[145:146], v[117:118], v[119:120]
	v_fma_f64 v[117:118], v[157:158], s[28:29], -v[135:136]
	v_mul_f64 v[119:120], v[165:166], s[18:19]
	v_add_f64 v[151:152], v[117:118], v[123:124]
	v_fma_f64 v[117:118], v[129:130], s[16:17], v[147:148]
	v_add_f64 v[155:156], v[117:118], v[131:132]
	v_fma_f64 v[117:118], v[157:158], s[16:17], -v[153:154]
	v_mul_f64 v[131:132], v[165:166], s[36:37]
	v_add_f64 v[161:162], v[117:118], v[137:138]
	v_mul_f64 v[117:118], v[185:186], s[18:19]
	v_fma_f64 v[123:124], v[149:150], s[16:17], v[117:118]
	v_add_f64 v[76:77], v[123:124], v[76:77]
	v_fma_f64 v[123:124], v[177:178], s[16:17], -v[119:120]
	v_add_f64 v[78:79], v[123:124], v[78:79]
	v_mul_f64 v[123:124], v[185:186], s[36:37]
	v_fma_f64 v[137:138], v[149:150], s[28:29], v[123:124]
	v_add_f64 v[163:164], v[137:138], v[141:142]
	v_fma_f64 v[137:138], v[177:178], s[28:29], -v[131:132]
	v_mul_f64 v[141:142], v[165:166], s[40:41]
	v_add_f64 v[167:168], v[137:138], v[143:144]
	v_mul_f64 v[137:138], v[185:186], s[40:41]
	v_fma_f64 v[143:144], v[149:150], s[2:3], v[137:138]
	v_add_f64 v[169:170], v[143:144], v[145:146]
	v_fma_f64 v[143:144], v[177:178], s[2:3], -v[141:142]
	v_mul_f64 v[145:146], v[179:180], s[26:27]
	v_add_f64 v[173:174], v[143:144], v[151:152]
	v_fma_f64 v[143:144], v[149:150], s[12:13], v[171:172]
	v_add_f64 v[181:182], v[143:144], v[155:156]
	v_fma_f64 v[143:144], v[177:178], s[12:13], -v[183:184]
	v_mul_f64 v[155:156], v[179:180], s[34:35]
	;; [unrolled: 22-line block ×3, first 2 shown]
	v_add_f64 v[220:221], v[167:168], v[187:188]
	v_mul_f64 v[167:168], v[205:206], s[30:31]
	v_mul_f64 v[187:188], v[205:206], s[26:27]
	v_fma_f64 v[173:174], v[197:198], s[28:29], v[167:168]
	v_add_f64 v[222:223], v[173:174], v[76:77]
	v_fma_f64 v[76:77], v[203:204], s[28:29], -v[169:170]
	v_mul_f64 v[173:174], v[205:206], s[38:39]
	v_add_f64 v[224:225], v[76:77], v[78:79]
	v_fma_f64 v[76:77], v[197:198], s[12:13], v[173:174]
	buffer_store_dword v222, off, s[44:47], 0 ; 4-byte Folded Spill
	s_nop 0
	buffer_store_dword v223, off, s[44:47], 0 offset:4 ; 4-byte Folded Spill
	buffer_store_dword v224, off, s[44:47], 0 offset:8 ; 4-byte Folded Spill
	;; [unrolled: 1-line block ×3, first 2 shown]
	v_add_f64 v[222:223], v[76:77], v[191:192]
	v_fma_f64 v[76:77], v[203:204], s[12:13], -v[181:182]
	v_mul_f64 v[191:192], v[201:202], s[26:27]
	v_add_f64 v[224:225], v[76:77], v[207:208]
	v_fma_f64 v[76:77], v[197:198], s[24:25], v[187:188]
	buffer_store_dword v222, off, s[44:47], 0 offset:16 ; 4-byte Folded Spill
	s_nop 0
	buffer_store_dword v223, off, s[44:47], 0 offset:20 ; 4-byte Folded Spill
	buffer_store_dword v224, off, s[44:47], 0 offset:24 ; 4-byte Folded Spill
	;; [unrolled: 1-line block ×3, first 2 shown]
	v_add_f64 v[207:208], v[76:77], v[209:210]
	v_fma_f64 v[76:77], v[203:204], s[24:25], -v[191:192]
	v_add_f64 v[209:210], v[76:77], v[216:217]
	buffer_store_dword v207, off, s[44:47], 0 offset:32 ; 4-byte Folded Spill
	s_nop 0
	buffer_store_dword v208, off, s[44:47], 0 offset:36 ; 4-byte Folded Spill
	buffer_store_dword v209, off, s[44:47], 0 offset:40 ; 4-byte Folded Spill
	;; [unrolled: 1-line block ×3, first 2 shown]
	v_mul_f64 v[207:208], v[205:206], s[40:41]
	v_mul_f64 v[209:210], v[201:202], s[40:41]
	v_fma_f64 v[76:77], v[197:198], s[2:3], v[207:208]
	v_add_f64 v[216:217], v[76:77], v[218:219]
	v_fma_f64 v[76:77], v[203:204], s[2:3], -v[209:210]
	v_add_f64 v[218:219], v[76:77], v[220:221]
	v_mul_lo_u16_e32 v76, 11, v236
	v_lshlrev_b32_e32 v76, 4, v76
	buffer_store_dword v216, off, s[44:47], 0 offset:48 ; 4-byte Folded Spill
	s_nop 0
	buffer_store_dword v217, off, s[44:47], 0 offset:52 ; 4-byte Folded Spill
	buffer_store_dword v218, off, s[44:47], 0 offset:56 ; 4-byte Folded Spill
	buffer_store_dword v219, off, s[44:47], 0 offset:60 ; 4-byte Folded Spill
	s_waitcnt vmcnt(0)
	s_barrier
	ds_write_b128 v76, v[211:214]
	ds_write_b128 v76, v[32:35] offset:16
	ds_write_b128 v76, v[40:43] offset:32
	ds_write_b128 v76, v[48:51] offset:48
	ds_write_b128 v76, v[52:55] offset:64
	ds_write_b128 v76, v[84:87] offset:80
	ds_write_b128 v76, v[80:83] offset:96
	ds_write_b128 v76, v[56:59] offset:112
	ds_write_b128 v76, v[44:47] offset:128
	ds_write_b128 v76, v[36:39] offset:144
	ds_write_b128 v76, v[28:31] offset:160
	v_mul_u32_u24_e32 v28, 11, v215
	buffer_store_dword v28, off, s[44:47], 0 offset:568 ; 4-byte Folded Spill
	s_and_saveexec_b64 s[42:43], vcc
	s_cbranch_execz .LBB0_7
; %bb.6:
	v_mul_f64 v[52:53], v[125:126], s[28:29]
	v_mul_f64 v[83:84], v[157:158], s[12:13]
	;; [unrolled: 1-line block ×8, first 2 shown]
	v_fma_f64 v[85:86], v[113:114], s[36:37], v[52:53]
	v_fma_f64 v[218:219], v[139:140], s[20:21], v[83:84]
	;; [unrolled: 1-line block ×3, first 2 shown]
	s_mov_b32 s21, 0x3fe82f19
	s_mov_b32 s20, s26
	v_fma_f64 v[226:227], v[165:166], s[20:21], v[216:217]
	v_fma_f64 v[83:84], v[139:140], s[38:39], v[83:84]
	v_mul_f64 v[28:29], v[105:106], s[24:25]
	v_add_f64 v[85:86], v[2:3], v[85:86]
	v_mul_f64 v[46:47], v[157:158], s[2:3]
	v_add_f64 v[52:53], v[2:3], v[52:53]
	v_mul_f64 v[50:51], v[157:158], s[24:25]
	v_mul_f64 v[56:57], v[157:158], s[28:29]
	;; [unrolled: 1-line block ×5, first 2 shown]
	v_add_f64 v[85:86], v[218:219], v[85:86]
	v_mul_f64 v[213:214], v[177:178], s[2:3]
	v_mul_f64 v[159:160], v[159:160], s[38:39]
	v_fma_f64 v[222:223], v[105:106], s[28:29], v[133:134]
	v_mul_f64 v[177:178], v[177:178], s[12:13]
	v_fma_f64 v[232:233], v[179:180], s[22:23], v[224:225]
	v_add_f64 v[52:53], v[83:84], v[52:53]
	v_mul_f64 v[83:84], v[203:204], s[16:17]
	v_add_f64 v[85:86], v[226:227], v[85:86]
	v_fma_f64 v[105:106], v[105:106], s[28:29], -v[133:134]
	v_add_f64 v[6:7], v[2:3], v[6:7]
	v_add_f64 v[4:5], v[0:1], v[4:5]
	v_mul_f64 v[44:45], v[129:130], s[2:3]
	v_mul_f64 v[48:49], v[129:130], s[24:25]
	;; [unrolled: 1-line block ×5, first 2 shown]
	v_fma_f64 v[218:219], v[129:130], s[12:13], v[159:160]
	v_add_f64 v[222:223], v[0:1], v[222:223]
	v_add_f64 v[85:86], v[232:233], v[85:86]
	v_fma_f64 v[165:166], v[165:166], s[26:27], v[216:217]
	v_fma_f64 v[129:130], v[129:130], s[12:13], -v[159:160]
	v_add_f64 v[177:178], v[183:184], v[177:178]
	v_fma_f64 v[183:184], v[201:202], s[34:35], v[83:84]
	v_add_f64 v[121:122], v[28:29], -v[121:122]
	v_add_f64 v[105:106], v[0:1], v[105:106]
	v_add_f64 v[6:7], v[6:7], v[10:11]
	;; [unrolled: 1-line block ×3, first 2 shown]
	v_mul_f64 v[34:35], v[125:126], s[12:13]
	v_mul_f64 v[40:41], v[125:126], s[2:3]
	;; [unrolled: 1-line block ×8, first 2 shown]
	v_fma_f64 v[113:114], v[149:150], s[24:25], v[185:186]
	v_add_f64 v[218:219], v[218:219], v[222:223]
	v_mul_f64 v[189:190], v[189:190], s[40:41]
	v_add_f64 v[28:29], v[183:184], v[85:86]
	v_fma_f64 v[85:86], v[179:180], s[40:41], v[224:225]
	v_add_f64 v[52:53], v[165:166], v[52:53]
	v_fma_f64 v[149:150], v[149:150], s[24:25], -v[185:186]
	v_add_f64 v[105:106], v[129:130], v[105:106]
	v_add_f64 v[58:59], v[58:59], -v[147:148]
	v_add_f64 v[121:122], v[0:1], v[121:122]
	v_add_f64 v[6:7], v[6:7], v[14:15]
	;; [unrolled: 1-line block ×4, first 2 shown]
	v_mul_f64 v[218:219], v[175:176], s[28:29]
	v_fma_f64 v[83:84], v[201:202], s[18:19], v[83:84]
	v_add_f64 v[52:53], v[85:86], v[52:53]
	v_fma_f64 v[85:86], v[175:176], s[2:3], -v[189:190]
	v_add_f64 v[105:106], v[149:150], v[105:106]
	v_add_f64 v[149:150], v[220:221], -v[171:172]
	v_add_f64 v[58:59], v[58:59], v[121:122]
	v_add_f64 v[111:112], v[111:112], v[32:33]
	;; [unrolled: 1-line block ×7, first 2 shown]
	v_add_f64 v[85:86], v[218:219], -v[193:194]
	v_add_f64 v[58:59], v[149:150], v[58:59]
	v_add_f64 v[105:106], v[2:3], v[111:112]
	;; [unrolled: 1-line block ×7, first 2 shown]
	v_add_f64 v[20:21], v[30:31], -v[88:89]
	v_add_f64 v[42:43], v[42:43], -v[97:98]
	;; [unrolled: 1-line block ×3, first 2 shown]
	v_add_f64 v[58:59], v[85:86], v[58:59]
	v_add_f64 v[85:86], v[141:142], v[213:214]
	;; [unrolled: 1-line block ×10, first 2 shown]
	v_add_f64 v[34:35], v[44:45], -v[99:100]
	v_add_f64 v[20:21], v[0:1], v[20:21]
	v_add_f64 v[42:43], v[0:1], v[42:43]
	v_add_f64 v[30:31], v[48:49], -v[107:108]
	v_add_f64 v[0:1], v[0:1], v[22:23]
	v_add_f64 v[10:11], v[54:55], -v[115:116]
	v_add_f64 v[77:78], v[153:154], v[77:78]
	v_mul_f64 v[226:227], v[195:196], s[16:17]
	v_mul_f64 v[232:233], v[195:196], s[12:13]
	v_add_f64 v[54:55], v[85:86], v[56:57]
	v_add_f64 v[56:57], v[131:132], v[157:158]
	;; [unrolled: 1-line block ×5, first 2 shown]
	v_mul_f64 v[228:229], v[175:176], s[24:25]
	v_mul_f64 v[230:231], v[195:196], s[24:25]
	v_add_f64 v[24:25], v[119:120], v[81:82]
	v_add_f64 v[2:3], v[38:39], v[2:3]
	v_add_f64 v[26:27], v[79:80], -v[117:118]
	v_add_f64 v[20:21], v[34:35], v[20:21]
	v_mul_f64 v[222:223], v[175:176], s[16:17]
	v_add_f64 v[22:23], v[125:126], -v[123:124]
	v_add_f64 v[0:1], v[30:31], v[0:1]
	v_mul_f64 v[139:140], v[175:176], s[12:13]
	;; [unrolled: 3-line block ×3, first 2 shown]
	v_add_f64 v[36:37], v[77:78], v[36:37]
	v_mul_f64 v[133:134], v[203:204], s[12:13]
	v_mul_f64 v[234:235], v[203:204], s[24:25]
	v_add_f64 v[8:9], v[163:164], v[232:233]
	v_add_f64 v[42:43], v[155:156], v[226:227]
	;; [unrolled: 1-line block ×5, first 2 shown]
	v_mul_f64 v[216:217], v[197:198], s[28:29]
	v_mul_f64 v[127:128], v[203:204], s[28:29]
	v_add_f64 v[34:35], v[145:146], v[230:231]
	v_add_f64 v[2:3], v[24:25], v[2:3]
	v_add_f64 v[24:25], v[228:229], -v[143:144]
	v_add_f64 v[20:21], v[26:27], v[20:21]
	v_mul_f64 v[159:160], v[197:198], s[12:13]
	v_add_f64 v[30:31], v[222:223], -v[151:152]
	v_add_f64 v[0:1], v[22:23], v[0:1]
	v_mul_f64 v[153:154], v[197:198], s[24:25]
	v_add_f64 v[18:19], v[139:140], -v[161:162]
	v_add_f64 v[10:11], v[14:15], v[10:11]
	v_mul_f64 v[77:78], v[197:198], s[2:3]
	v_mul_f64 v[203:204], v[203:204], s[2:3]
	v_add_f64 v[129:130], v[199:200], v[195:196]
	v_add_f64 v[36:37], v[177:178], v[36:37]
	v_mul_f64 v[205:206], v[205:206], s[18:19]
	v_fma_f64 v[165:166], v[175:176], s[2:3], v[189:190]
	v_add_f64 v[12:13], v[191:192], v[234:235]
	v_add_f64 v[8:9], v[8:9], v[54:55]
	v_add_f64 v[14:15], v[181:182], v[133:134]
	v_add_f64 v[40:41], v[42:43], v[40:41]
	v_add_f64 v[42:43], v[6:7], v[70:71]
	v_add_f64 v[4:5], v[4:5], v[68:69]
	v_add_f64 v[26:27], v[169:170], v[127:128]
	v_add_f64 v[34:35], v[34:35], v[2:3]
	v_add_f64 v[38:39], v[216:217], -v[167:168]
	v_add_f64 v[20:21], v[24:25], v[20:21]
	v_add_f64 v[22:23], v[159:160], -v[173:174]
	v_add_f64 v[0:1], v[30:31], v[0:1]
	;; [unrolled: 2-line block ×3, first 2 shown]
	v_add_f64 v[147:148], v[209:210], v[203:204]
	v_add_f64 v[36:37], v[129:130], v[36:37]
	v_add_f64 v[77:78], v[77:78], -v[207:208]
	v_fma_f64 v[52:53], v[197:198], s[16:17], -v[205:206]
	v_fma_f64 v[179:180], v[197:198], s[16:17], v[205:206]
	v_add_f64 v[113:114], v[165:166], v[113:114]
	v_add_f64 v[2:3], v[12:13], v[8:9]
	;; [unrolled: 1-line block ×13, first 2 shown]
	v_mul_u32_u24_e32 v16, 11, v215
	v_lshlrev_b32_e32 v16, 4, v16
	ds_write_b128 v16, v[12:15]
	ds_write_b128 v16, v[8:11] offset:16
	ds_write_b128 v16, v[4:7] offset:32
	;; [unrolled: 1-line block ×6, first 2 shown]
	buffer_load_dword v0, off, s[44:47], 0 offset:48 ; 4-byte Folded Reload
	buffer_load_dword v1, off, s[44:47], 0 offset:52 ; 4-byte Folded Reload
	buffer_load_dword v2, off, s[44:47], 0 offset:56 ; 4-byte Folded Reload
	buffer_load_dword v3, off, s[44:47], 0 offset:60 ; 4-byte Folded Reload
	s_waitcnt vmcnt(0)
	ds_write_b128 v16, v[0:3] offset:112
	buffer_load_dword v0, off, s[44:47], 0 offset:32 ; 4-byte Folded Reload
	buffer_load_dword v1, off, s[44:47], 0 offset:36 ; 4-byte Folded Reload
	buffer_load_dword v2, off, s[44:47], 0 offset:40 ; 4-byte Folded Reload
	buffer_load_dword v3, off, s[44:47], 0 offset:44 ; 4-byte Folded Reload
	s_waitcnt vmcnt(0)
	ds_write_b128 v16, v[0:3] offset:128
	;; [unrolled: 6-line block ×3, first 2 shown]
	buffer_load_dword v0, off, s[44:47], 0  ; 4-byte Folded Reload
	buffer_load_dword v1, off, s[44:47], 0 offset:4 ; 4-byte Folded Reload
	buffer_load_dword v2, off, s[44:47], 0 offset:8 ; 4-byte Folded Reload
	;; [unrolled: 1-line block ×3, first 2 shown]
	s_waitcnt vmcnt(0)
	ds_write_b128 v16, v[0:3] offset:160
.LBB0_7:
	s_or_b64 exec, exec, s[42:43]
	v_mov_b32_e32 v0, s15
	v_addc_co_u32_e64 v64, s[0:1], 0, v0, s[0:1]
	s_movk_i32 s0, 0xc6
	v_add_co_u32_e64 v65, s[0:1], s0, v236
	s_movk_i32 s0, 0x75
	v_mul_lo_u16_sdwa v52, v236, s0 dst_sel:DWORD dst_unused:UNUSED_PAD src0_sel:BYTE_0 src1_sel:DWORD
	v_sub_u16_sdwa v53, v236, v52 dst_sel:DWORD dst_unused:UNUSED_PAD src0_sel:DWORD src1_sel:BYTE_1
	v_lshrrev_b16_e32 v53, 1, v53
	v_and_b32_e32 v53, 0x7f, v53
	v_add_u16_sdwa v52, v53, v52 dst_sel:DWORD dst_unused:UNUSED_PAD src0_sel:DWORD src1_sel:BYTE_1
	v_lshrrev_b16_e32 v69, 3, v52
	v_mul_lo_u16_e32 v52, 11, v69
	v_sub_u16_e32 v52, v236, v52
	v_and_b32_e32 v70, 0xff, v52
	v_lshlrev_b32_e32 v52, 5, v70
	s_waitcnt vmcnt(0) lgkmcnt(0)
	s_barrier
	ds_read_b128 v[20:23], v94
	ds_read_b128 v[32:35], v94 offset:9504
	ds_read_b128 v[36:39], v94 offset:19008
	;; [unrolled: 1-line block ×17, first 2 shown]
	global_load_dwordx4 v[133:136], v52, s[4:5] offset:16
	global_load_dwordx4 v[54:57], v52, s[4:5]
	v_add_u32_e32 v68, 0x129, v236
	v_add_u32_e32 v67, 0x18c, v236
	;; [unrolled: 1-line block ×3, first 2 shown]
	s_mov_b32 s2, 0xe8584caa
	s_mov_b32 s3, 0x3febb67a
	s_mov_b32 s13, 0xbfebb67a
	s_mov_b32 s12, s2
	s_mov_b32 s15, 0xf83f
	s_waitcnt vmcnt(0) lgkmcnt(14)
	v_mul_f64 v[52:53], v[34:35], v[56:57]
	v_fma_f64 v[84:85], v[32:33], v[54:55], -v[52:53]
	v_mul_f64 v[32:33], v[32:33], v[56:57]
	buffer_store_dword v54, off, s[44:47], 0 offset:252 ; 4-byte Folded Spill
	s_nop 0
	buffer_store_dword v55, off, s[44:47], 0 offset:256 ; 4-byte Folded Spill
	buffer_store_dword v56, off, s[44:47], 0 offset:260 ; 4-byte Folded Spill
	;; [unrolled: 1-line block ×3, first 2 shown]
	v_fma_f64 v[86:87], v[34:35], v[54:55], v[32:33]
	v_mul_f64 v[32:33], v[38:39], v[135:136]
	v_fma_f64 v[111:112], v[36:37], v[133:134], -v[32:33]
	v_mul_f64 v[32:33], v[36:37], v[135:136]
	v_fma_f64 v[113:114], v[38:39], v[133:134], v[32:33]
	v_mul_lo_u16_sdwa v32, v215, s0 dst_sel:DWORD dst_unused:UNUSED_PAD src0_sel:BYTE_0 src1_sel:DWORD
	v_sub_u16_sdwa v33, v215, v32 dst_sel:DWORD dst_unused:UNUSED_PAD src0_sel:DWORD src1_sel:BYTE_1
	v_lshrrev_b16_e32 v33, 1, v33
	v_and_b32_e32 v33, 0x7f, v33
	v_add_u16_sdwa v32, v33, v32 dst_sel:DWORD dst_unused:UNUSED_PAD src0_sel:DWORD src1_sel:BYTE_1
	v_lshrrev_b16_e32 v71, 3, v32
	v_mul_lo_u16_e32 v32, 11, v71
	v_sub_u16_e32 v32, v215, v32
	v_and_b32_e32 v72, 0xff, v32
	v_lshlrev_b32_e32 v32, 5, v72
	global_load_dwordx4 v[34:37], v32, s[4:5] offset:16
	global_load_dwordx4 v[56:59], v32, s[4:5]
	s_mov_b32 s0, 0xba2f
	s_waitcnt vmcnt(0) lgkmcnt(13)
	v_mul_f64 v[32:33], v[42:43], v[58:59]
	v_fma_f64 v[54:55], v[40:41], v[56:57], -v[32:33]
	v_mul_f64 v[32:33], v[40:41], v[58:59]
	buffer_store_dword v56, off, s[44:47], 0 offset:284 ; 4-byte Folded Spill
	s_nop 0
	buffer_store_dword v57, off, s[44:47], 0 offset:288 ; 4-byte Folded Spill
	buffer_store_dword v58, off, s[44:47], 0 offset:292 ; 4-byte Folded Spill
	buffer_store_dword v59, off, s[44:47], 0 offset:296 ; 4-byte Folded Spill
	v_fma_f64 v[58:59], v[42:43], v[56:57], v[32:33]
	s_waitcnt lgkmcnt(12)
	v_mul_f64 v[32:33], v[46:47], v[36:37]
	v_fma_f64 v[60:61], v[44:45], v[34:35], -v[32:33]
	v_mul_f64 v[32:33], v[44:45], v[36:37]
	buffer_store_dword v34, off, s[44:47], 0 offset:268 ; 4-byte Folded Spill
	s_nop 0
	buffer_store_dword v35, off, s[44:47], 0 offset:272 ; 4-byte Folded Spill
	buffer_store_dword v36, off, s[44:47], 0 offset:276 ; 4-byte Folded Spill
	buffer_store_dword v37, off, s[44:47], 0 offset:280 ; 4-byte Folded Spill
	v_fma_f64 v[62:63], v[46:47], v[34:35], v[32:33]
	v_mul_u32_u24_sdwa v32, v65, s0 dst_sel:DWORD dst_unused:UNUSED_PAD src0_sel:WORD_0 src1_sel:DWORD
	v_lshrrev_b32_e32 v73, 19, v32
	v_mul_lo_u16_e32 v32, 11, v73
	v_sub_u16_e32 v74, v65, v32
	v_lshlrev_b16_e32 v32, 1, v74
	v_lshlrev_b32_e32 v32, 4, v32
	global_load_dwordx4 v[34:37], v32, s[4:5] offset:16
	global_load_dwordx4 v[38:41], v32, s[4:5]
	s_waitcnt vmcnt(0) lgkmcnt(10)
	v_mul_f64 v[32:33], v[50:51], v[40:41]
	v_fma_f64 v[42:43], v[48:49], v[38:39], -v[32:33]
	v_mul_f64 v[32:33], v[48:49], v[40:41]
	buffer_store_dword v38, off, s[44:47], 0 offset:316 ; 4-byte Folded Spill
	s_nop 0
	buffer_store_dword v39, off, s[44:47], 0 offset:320 ; 4-byte Folded Spill
	buffer_store_dword v40, off, s[44:47], 0 offset:324 ; 4-byte Folded Spill
	buffer_store_dword v41, off, s[44:47], 0 offset:328 ; 4-byte Folded Spill
	v_fma_f64 v[48:49], v[50:51], v[38:39], v[32:33]
	s_waitcnt lgkmcnt(9)
	v_mul_f64 v[32:33], v[79:80], v[36:37]
	v_fma_f64 v[50:51], v[77:78], v[34:35], -v[32:33]
	v_mul_f64 v[32:33], v[77:78], v[36:37]
	buffer_store_dword v34, off, s[44:47], 0 offset:300 ; 4-byte Folded Spill
	s_nop 0
	buffer_store_dword v35, off, s[44:47], 0 offset:304 ; 4-byte Folded Spill
	buffer_store_dword v36, off, s[44:47], 0 offset:308 ; 4-byte Folded Spill
	buffer_store_dword v37, off, s[44:47], 0 offset:312 ; 4-byte Folded Spill
	v_fma_f64 v[56:57], v[79:80], v[34:35], v[32:33]
	v_mul_u32_u24_sdwa v32, v68, s0 dst_sel:DWORD dst_unused:UNUSED_PAD src0_sel:WORD_0 src1_sel:DWORD
	v_lshrrev_b32_e32 v75, 19, v32
	v_mul_lo_u16_e32 v32, 11, v75
	v_sub_u16_e32 v81, v68, v32
	v_lshlrev_b16_e32 v32, 1, v81
	v_lshlrev_b32_e32 v32, 4, v32
	global_load_dwordx4 v[34:37], v32, s[4:5] offset:16
	global_load_dwordx4 v[44:47], v32, s[4:5]
	;; [unrolled: 28-line block ×3, first 2 shown]
	s_waitcnt vmcnt(0) lgkmcnt(4)
	v_mul_f64 v[32:33], v[105:106], v[38:39]
	v_mul_f64 v[34:35], v[103:104], v[38:39]
	v_fma_f64 v[32:33], v[103:104], v[36:37], -v[32:33]
	buffer_store_dword v36, off, s[44:47], 0 offset:380 ; 4-byte Folded Spill
	s_nop 0
	buffer_store_dword v37, off, s[44:47], 0 offset:384 ; 4-byte Folded Spill
	buffer_store_dword v38, off, s[44:47], 0 offset:388 ; 4-byte Folded Spill
	;; [unrolled: 1-line block ×3, first 2 shown]
	s_waitcnt lgkmcnt(3)
	v_mul_f64 v[38:39], v[107:108], v[79:80]
	v_fma_f64 v[34:35], v[105:106], v[36:37], v[34:35]
	v_mul_f64 v[36:37], v[109:110], v[79:80]
	v_fma_f64 v[36:37], v[107:108], v[77:78], -v[36:37]
	buffer_store_dword v77, off, s[44:47], 0 offset:364 ; 4-byte Folded Spill
	s_nop 0
	buffer_store_dword v78, off, s[44:47], 0 offset:368 ; 4-byte Folded Spill
	buffer_store_dword v79, off, s[44:47], 0 offset:372 ; 4-byte Folded Spill
	buffer_store_dword v80, off, s[44:47], 0 offset:376 ; 4-byte Folded Spill
	v_fma_f64 v[38:39], v[109:110], v[77:78], v[38:39]
	v_mul_u32_u24_sdwa v77, v66, s0 dst_sel:DWORD dst_unused:UNUSED_PAD src0_sel:WORD_0 src1_sel:DWORD
	v_lshrrev_b32_e32 v95, 19, v77
	v_mul_lo_u16_e32 v77, 11, v95
	v_sub_u16_e32 v108, v66, v77
	v_lshlrev_b16_e32 v77, 1, v108
	v_lshlrev_b32_e32 v77, 4, v77
	global_load_dwordx4 v[88:91], v77, s[4:5] offset:16
	s_nop 0
	global_load_dwordx4 v[77:80], v77, s[4:5]
	s_movk_i32 s0, 0xf9
	s_waitcnt vmcnt(0) lgkmcnt(1)
	v_mul_f64 v[109:110], v[30:31], v[79:80]
	v_fma_f64 v[125:126], v[28:29], v[77:78], -v[109:110]
	v_mul_f64 v[28:29], v[28:29], v[79:80]
	buffer_store_dword v77, off, s[44:47], 0 offset:412 ; 4-byte Folded Spill
	s_nop 0
	buffer_store_dword v78, off, s[44:47], 0 offset:416 ; 4-byte Folded Spill
	buffer_store_dword v79, off, s[44:47], 0 offset:420 ; 4-byte Folded Spill
	;; [unrolled: 1-line block ×3, first 2 shown]
	v_fma_f64 v[127:128], v[30:31], v[77:78], v[28:29]
	s_waitcnt lgkmcnt(0)
	v_mul_f64 v[28:29], v[26:27], v[90:91]
	v_add_f64 v[30:31], v[86:87], v[113:114]
	v_fma_f64 v[129:130], v[24:25], v[88:89], -v[28:29]
	v_mul_f64 v[24:25], v[24:25], v[90:91]
	buffer_store_dword v88, off, s[44:47], 0 offset:396 ; 4-byte Folded Spill
	s_nop 0
	buffer_store_dword v89, off, s[44:47], 0 offset:400 ; 4-byte Folded Spill
	buffer_store_dword v90, off, s[44:47], 0 offset:404 ; 4-byte Folded Spill
	;; [unrolled: 1-line block ×3, first 2 shown]
	v_add_f64 v[28:29], v[86:87], -v[113:114]
	v_fma_f64 v[30:31], v[30:31], -0.5, v[22:23]
	s_waitcnt vmcnt(0)
	s_barrier
	v_fma_f64 v[131:132], v[26:27], v[88:89], v[24:25]
	v_add_f64 v[26:27], v[84:85], v[111:112]
	v_add_f64 v[24:25], v[20:21], v[84:85]
	v_add_f64 v[84:85], v[84:85], -v[111:112]
	v_fma_f64 v[26:27], v[26:27], -0.5, v[20:21]
	v_add_f64 v[24:25], v[24:25], v[111:112]
	v_fma_f64 v[20:21], v[28:29], s[2:3], v[26:27]
	v_fma_f64 v[28:29], v[28:29], s[12:13], v[26:27]
	v_add_f64 v[26:27], v[22:23], v[86:87]
	v_fma_f64 v[22:23], v[84:85], s[12:13], v[30:31]
	v_fma_f64 v[30:31], v[84:85], s[2:3], v[30:31]
	v_add_f64 v[84:85], v[16:17], v[54:55]
	v_add_f64 v[86:87], v[58:59], -v[62:63]
	v_add_f64 v[26:27], v[26:27], v[113:114]
	v_add_f64 v[109:110], v[84:85], v[60:61]
	v_add_f64 v[84:85], v[54:55], v[60:61]
	v_add_f64 v[54:55], v[54:55], -v[60:61]
	v_add_f64 v[60:61], v[48:49], -v[56:57]
	v_fma_f64 v[84:85], v[84:85], -0.5, v[16:17]
	v_fma_f64 v[16:17], v[86:87], s[2:3], v[84:85]
	v_fma_f64 v[113:114], v[86:87], s[12:13], v[84:85]
	v_add_f64 v[84:85], v[18:19], v[58:59]
	v_add_f64 v[58:59], v[58:59], v[62:63]
	v_add_f64 v[111:112], v[84:85], v[62:63]
	v_fma_f64 v[58:59], v[58:59], -0.5, v[18:19]
	v_fma_f64 v[18:19], v[54:55], s[12:13], v[58:59]
	v_fma_f64 v[115:116], v[54:55], s[2:3], v[58:59]
	v_add_f64 v[54:55], v[12:13], v[42:43]
	v_add_f64 v[58:59], v[54:55], v[50:51]
	v_add_f64 v[54:55], v[42:43], v[50:51]
	v_add_f64 v[42:43], v[42:43], -v[50:51]
	v_add_f64 v[50:51], v[44:45], -v[52:53]
	v_fma_f64 v[54:55], v[54:55], -0.5, v[12:13]
	v_fma_f64 v[12:13], v[60:61], s[2:3], v[54:55]
	v_fma_f64 v[54:55], v[60:61], s[12:13], v[54:55]
	v_add_f64 v[60:61], v[14:15], v[48:49]
	v_add_f64 v[48:49], v[48:49], v[56:57]
	v_add_f64 v[60:61], v[60:61], v[56:57]
	v_fma_f64 v[48:49], v[48:49], -0.5, v[14:15]
	v_fma_f64 v[14:15], v[42:43], s[12:13], v[48:49]
	v_fma_f64 v[56:57], v[42:43], s[2:3], v[48:49]
	;; [unrolled: 14-line block ×3, first 2 shown]
	v_add_f64 v[40:41], v[4:5], v[32:33]
	v_add_f64 v[117:118], v[40:41], v[36:37]
	;; [unrolled: 1-line block ×3, first 2 shown]
	v_add_f64 v[32:33], v[32:33], -v[36:37]
	v_add_f64 v[36:37], v[127:128], -v[131:132]
	v_fma_f64 v[40:41], v[40:41], -0.5, v[4:5]
	v_fma_f64 v[4:5], v[46:47], s[2:3], v[40:41]
	v_fma_f64 v[121:122], v[46:47], s[12:13], v[40:41]
	v_add_f64 v[40:41], v[6:7], v[34:35]
	v_add_f64 v[34:35], v[34:35], v[38:39]
	v_mov_b32_e32 v46, s5
	v_add_f64 v[119:120], v[40:41], v[38:39]
	v_fma_f64 v[34:35], v[34:35], -0.5, v[6:7]
	v_add_f64 v[38:39], v[127:128], v[131:132]
	v_add_f64 v[40:41], v[125:126], -v[129:130]
	v_fma_f64 v[6:7], v[32:33], s[12:13], v[34:35]
	v_fma_f64 v[123:124], v[32:33], s[2:3], v[34:35]
	v_add_f64 v[34:35], v[125:126], v[129:130]
	v_fma_f64 v[38:39], v[38:39], -0.5, v[2:3]
	v_add_f64 v[32:33], v[0:1], v[125:126]
	v_fma_f64 v[34:35], v[34:35], -0.5, v[0:1]
	v_add_f64 v[32:33], v[32:33], v[129:130]
	v_fma_f64 v[0:1], v[36:37], s[2:3], v[34:35]
	v_fma_f64 v[36:37], v[36:37], s[12:13], v[34:35]
	v_add_f64 v[34:35], v[2:3], v[127:128]
	v_fma_f64 v[2:3], v[40:41], s[12:13], v[38:39]
	v_fma_f64 v[38:39], v[40:41], s[2:3], v[38:39]
	v_mul_u32_u24_e32 v40, 33, v69
	v_add_f64 v[34:35], v[34:35], v[131:132]
	v_add_lshl_u32 v131, v40, v70, 4
	ds_write_b128 v131, v[24:27]
	ds_write_b128 v131, v[20:23] offset:176
	ds_write_b128 v131, v[28:31] offset:352
	v_mul_u32_u24_e32 v20, 33, v71
	v_add_lshl_u32 v130, v20, v72, 4
	ds_write_b128 v130, v[109:112]
	ds_write_b128 v130, v[16:19] offset:176
	ds_write_b128 v130, v[113:116] offset:352
	v_mad_legacy_u16 v16, v73, 33, v74
	v_lshlrev_b32_e32 v16, 4, v16
	ds_write_b128 v16, v[58:61]
	ds_write_b128 v16, v[12:15] offset:176
	v_mad_legacy_u16 v12, v75, 33, v81
	v_lshlrev_b32_e32 v89, 4, v12
	buffer_store_dword v16, off, s[44:47], 0 offset:544 ; 4-byte Folded Spill
	ds_write_b128 v16, v[54:57] offset:352
	ds_write_b128 v89, v[48:51]
	ds_write_b128 v89, v[8:11] offset:176
	ds_write_b128 v89, v[42:45] offset:352
	v_mul_lo_u16_sdwa v44, v236, s0 dst_sel:DWORD dst_unused:UNUSED_PAD src0_sel:BYTE_0 src1_sel:DWORD
	v_lshrrev_b16_e32 v47, 13, v44
	v_mad_legacy_u16 v8, v82, 33, v83
	v_mul_lo_u16_e32 v44, 33, v47
	v_lshlrev_b32_e32 v97, 4, v8
	v_sub_u16_e32 v44, v236, v44
	ds_write_b128 v97, v[117:120]
	ds_write_b128 v97, v[4:7] offset:176
	ds_write_b128 v97, v[121:124] offset:352
	v_mad_legacy_u16 v4, v95, 33, v108
	v_and_b32_e32 v48, 0xff, v44
	v_lshlrev_b32_e32 v4, 4, v4
	v_lshlrev_b32_e32 v44, 5, v48
	ds_write_b128 v4, v[32:35]
	ds_write_b128 v4, v[0:3] offset:176
	buffer_store_dword v4, off, s[44:47], 0 offset:548 ; 4-byte Folded Spill
	ds_write_b128 v4, v[36:39] offset:352
	s_waitcnt vmcnt(0) lgkmcnt(0)
	s_barrier
	ds_read_b128 v[20:23], v94
	ds_read_b128 v[32:35], v94 offset:9504
	ds_read_b128 v[36:39], v94 offset:19008
	;; [unrolled: 1-line block ×17, first 2 shown]
	global_load_dwordx4 v[118:121], v44, s[4:5] offset:368
	global_load_dwordx4 v[126:129], v44, s[4:5] offset:352
	s_waitcnt vmcnt(0) lgkmcnt(14)
	v_mul_f64 v[44:45], v[34:35], v[128:129]
	v_fma_f64 v[73:74], v[32:33], v[126:127], -v[44:45]
	v_mul_f64 v[32:33], v[32:33], v[128:129]
	v_fma_f64 v[81:82], v[34:35], v[126:127], v[32:33]
	v_mul_f64 v[32:33], v[38:39], v[120:121]
	v_fma_f64 v[83:84], v[36:37], v[118:119], -v[32:33]
	v_mul_f64 v[32:33], v[36:37], v[120:121]
	v_fma_f64 v[85:86], v[38:39], v[118:119], v[32:33]
	v_mul_lo_u16_sdwa v32, v215, s0 dst_sel:DWORD dst_unused:UNUSED_PAD src0_sel:BYTE_0 src1_sel:DWORD
	v_lshrrev_b16_e32 v49, 13, v32
	v_mul_lo_u16_e32 v32, 33, v49
	v_sub_u16_e32 v32, v215, v32
	v_and_b32_e32 v50, 0xff, v32
	v_lshlrev_b32_e32 v32, 5, v50
	global_load_dwordx4 v[148:151], v32, s[4:5] offset:368
	global_load_dwordx4 v[34:37], v32, s[4:5] offset:352
	s_waitcnt vmcnt(0) lgkmcnt(13)
	v_mul_f64 v[32:33], v[42:43], v[36:37]
	v_fma_f64 v[156:157], v[40:41], v[34:35], -v[32:33]
	v_mul_f64 v[32:33], v[40:41], v[36:37]
	buffer_store_dword v34, off, s[44:47], 0 offset:428 ; 4-byte Folded Spill
	s_nop 0
	buffer_store_dword v35, off, s[44:47], 0 offset:432 ; 4-byte Folded Spill
	buffer_store_dword v36, off, s[44:47], 0 offset:436 ; 4-byte Folded Spill
	;; [unrolled: 1-line block ×3, first 2 shown]
	v_fma_f64 v[158:159], v[42:43], v[34:35], v[32:33]
	s_waitcnt lgkmcnt(12)
	v_mul_f64 v[32:33], v[53:54], v[150:151]
	v_fma_f64 v[160:161], v[51:52], v[148:149], -v[32:33]
	v_mul_f64 v[32:33], v[51:52], v[150:151]
	v_fma_f64 v[162:163], v[53:54], v[148:149], v[32:33]
	v_mul_u32_u24_sdwa v32, v65, s15 dst_sel:DWORD dst_unused:UNUSED_PAD src0_sel:WORD_0 src1_sel:DWORD
	v_lshrrev_b32_e32 v51, 21, v32
	v_mul_lo_u16_e32 v32, 33, v51
	v_sub_u16_e32 v52, v65, v32
	v_lshlrev_b16_e32 v32, 5, v52
	v_add_co_u32_e64 v32, s[0:1], s4, v32
	v_addc_co_u32_e64 v33, s[0:1], 0, v46, s[0:1]
	global_load_dwordx4 v[34:37], v[32:33], off offset:368
	global_load_dwordx4 v[38:41], v[32:33], off offset:352
	s_waitcnt vmcnt(0) lgkmcnt(10)
	v_mul_f64 v[32:33], v[57:58], v[40:41]
	v_fma_f64 v[164:165], v[55:56], v[38:39], -v[32:33]
	v_mul_f64 v[32:33], v[55:56], v[40:41]
	buffer_store_dword v38, off, s[44:47], 0 offset:460 ; 4-byte Folded Spill
	s_nop 0
	buffer_store_dword v39, off, s[44:47], 0 offset:464 ; 4-byte Folded Spill
	buffer_store_dword v40, off, s[44:47], 0 offset:468 ; 4-byte Folded Spill
	;; [unrolled: 1-line block ×3, first 2 shown]
	v_fma_f64 v[166:167], v[57:58], v[38:39], v[32:33]
	s_waitcnt lgkmcnt(9)
	v_mul_f64 v[32:33], v[61:62], v[36:37]
	v_mul_u32_u24_sdwa v57, v66, s15 dst_sel:DWORD dst_unused:UNUSED_PAD src0_sel:WORD_0 src1_sel:DWORD
	v_lshrrev_b32_e32 v57, 21, v57
	v_mul_lo_u16_e32 v58, 33, v57
	v_sub_u16_e32 v58, v66, v58
	v_fma_f64 v[168:169], v[59:60], v[34:35], -v[32:33]
	v_mul_f64 v[32:33], v[59:60], v[36:37]
	buffer_store_dword v34, off, s[44:47], 0 offset:444 ; 4-byte Folded Spill
	s_nop 0
	buffer_store_dword v35, off, s[44:47], 0 offset:448 ; 4-byte Folded Spill
	buffer_store_dword v36, off, s[44:47], 0 offset:452 ; 4-byte Folded Spill
	;; [unrolled: 1-line block ×3, first 2 shown]
	v_lshlrev_b16_e32 v59, 5, v58
	v_fma_f64 v[170:171], v[61:62], v[34:35], v[32:33]
	v_mul_u32_u24_sdwa v32, v68, s15 dst_sel:DWORD dst_unused:UNUSED_PAD src0_sel:WORD_0 src1_sel:DWORD
	v_lshrrev_b32_e32 v53, 21, v32
	v_mul_lo_u16_e32 v32, 33, v53
	v_sub_u16_e32 v54, v68, v32
	v_lshlrev_b16_e32 v32, 5, v54
	v_add_co_u32_e64 v32, s[0:1], s4, v32
	v_addc_co_u32_e64 v33, s[0:1], 0, v46, s[0:1]
	global_load_dwordx4 v[34:37], v[32:33], off offset:368
	global_load_dwordx4 v[42:45], v[32:33], off offset:352
	v_add_f64 v[61:62], v[156:157], v[160:161]
	v_fma_f64 v[61:62], v[61:62], -0.5, v[16:17]
	s_waitcnt vmcnt(0) lgkmcnt(7)
	v_mul_f64 v[32:33], v[71:72], v[44:45]
	v_fma_f64 v[40:41], v[69:70], v[42:43], -v[32:33]
	v_mul_f64 v[32:33], v[69:70], v[44:45]
	buffer_store_dword v42, off, s[44:47], 0 offset:492 ; 4-byte Folded Spill
	s_nop 0
	buffer_store_dword v43, off, s[44:47], 0 offset:496 ; 4-byte Folded Spill
	buffer_store_dword v44, off, s[44:47], 0 offset:500 ; 4-byte Folded Spill
	;; [unrolled: 1-line block ×3, first 2 shown]
	v_add_f64 v[69:70], v[158:159], -v[162:163]
	v_fma_f64 v[42:43], v[71:72], v[42:43], v[32:33]
	s_waitcnt lgkmcnt(6)
	v_mul_f64 v[32:33], v[142:143], v[36:37]
	v_add_f64 v[71:72], v[158:159], v[162:163]
	v_fma_f64 v[44:45], v[140:141], v[34:35], -v[32:33]
	v_mul_f64 v[32:33], v[140:141], v[36:37]
	buffer_store_dword v34, off, s[44:47], 0 offset:476 ; 4-byte Folded Spill
	s_nop 0
	buffer_store_dword v35, off, s[44:47], 0 offset:480 ; 4-byte Folded Spill
	buffer_store_dword v36, off, s[44:47], 0 offset:484 ; 4-byte Folded Spill
	;; [unrolled: 1-line block ×3, first 2 shown]
	v_fma_f64 v[71:72], v[71:72], -0.5, v[18:19]
	v_fma_f64 v[172:173], v[142:143], v[34:35], v[32:33]
	v_mul_u32_u24_sdwa v32, v67, s15 dst_sel:DWORD dst_unused:UNUSED_PAD src0_sel:WORD_0 src1_sel:DWORD
	v_lshrrev_b32_e32 v55, 21, v32
	v_mul_lo_u16_e32 v32, 33, v55
	v_sub_u16_e32 v56, v67, v32
	v_lshlrev_b16_e32 v32, 5, v56
	v_add_co_u32_e64 v32, s[0:1], s4, v32
	v_addc_co_u32_e64 v33, s[0:1], 0, v46, s[0:1]
	global_load_dwordx4 v[137:140], v[32:33], off offset:368
	global_load_dwordx4 v[36:39], v[32:33], off offset:352
	v_add_co_u32_e64 v59, s[0:1], s4, v59
	v_addc_co_u32_e64 v60, s[0:1], 0, v46, s[0:1]
	s_waitcnt vmcnt(0) lgkmcnt(4)
	v_mul_f64 v[32:33], v[146:147], v[38:39]
	v_mul_f64 v[34:35], v[144:145], v[38:39]
	v_fma_f64 v[32:33], v[144:145], v[36:37], -v[32:33]
	buffer_store_dword v36, off, s[44:47], 0 offset:508 ; 4-byte Folded Spill
	s_nop 0
	buffer_store_dword v37, off, s[44:47], 0 offset:512 ; 4-byte Folded Spill
	buffer_store_dword v38, off, s[44:47], 0 offset:516 ; 4-byte Folded Spill
	buffer_store_dword v39, off, s[44:47], 0 offset:520 ; 4-byte Folded Spill
	s_waitcnt lgkmcnt(3)
	v_mul_f64 v[38:39], v[152:153], v[139:140]
	v_fma_f64 v[38:39], v[154:155], v[137:138], v[38:39]
	v_fma_f64 v[34:35], v[146:147], v[36:37], v[34:35]
	v_mul_f64 v[36:37], v[154:155], v[139:140]
	v_fma_f64 v[36:37], v[152:153], v[137:138], -v[36:37]
	global_load_dwordx4 v[122:125], v[59:60], off offset:368
	global_load_dwordx4 v[152:155], v[59:60], off offset:352
	s_waitcnt vmcnt(0) lgkmcnt(0)
	s_barrier
	v_mul_f64 v[59:60], v[30:31], v[154:155]
	v_fma_f64 v[176:177], v[28:29], v[152:153], -v[59:60]
	v_mul_f64 v[28:29], v[28:29], v[154:155]
	v_add_f64 v[59:60], v[73:74], -v[83:84]
	v_fma_f64 v[178:179], v[30:31], v[152:153], v[28:29]
	v_mul_f64 v[28:29], v[26:27], v[124:125]
	v_add_f64 v[30:31], v[81:82], v[85:86]
	v_fma_f64 v[180:181], v[24:25], v[122:123], -v[28:29]
	v_mul_f64 v[24:25], v[24:25], v[124:125]
	v_add_f64 v[28:29], v[81:82], -v[85:86]
	v_fma_f64 v[30:31], v[30:31], -0.5, v[22:23]
	v_fma_f64 v[182:183], v[26:27], v[122:123], v[24:25]
	v_add_f64 v[26:27], v[73:74], v[83:84]
	v_add_f64 v[24:25], v[20:21], v[73:74]
	v_add_f64 v[73:74], v[156:157], -v[160:161]
	v_fma_f64 v[26:27], v[26:27], -0.5, v[20:21]
	v_add_f64 v[24:25], v[24:25], v[83:84]
	v_fma_f64 v[20:21], v[28:29], s[2:3], v[26:27]
	v_fma_f64 v[28:29], v[28:29], s[12:13], v[26:27]
	v_add_f64 v[26:27], v[22:23], v[81:82]
	v_fma_f64 v[22:23], v[59:60], s[12:13], v[30:31]
	v_fma_f64 v[30:31], v[59:60], s[2:3], v[30:31]
	;; [unrolled: 3-line block ×4, first 2 shown]
	v_add_f64 v[73:74], v[12:13], v[164:165]
	v_add_f64 v[81:82], v[166:167], -v[170:171]
	v_add_f64 v[59:60], v[59:60], v[160:161]
	v_add_f64 v[26:27], v[26:27], v[85:86]
	;; [unrolled: 1-line block ×5, first 2 shown]
	v_fma_f64 v[73:74], v[73:74], -0.5, v[12:13]
	v_fma_f64 v[12:13], v[81:82], s[2:3], v[73:74]
	v_fma_f64 v[160:161], v[81:82], s[12:13], v[73:74]
	v_add_f64 v[73:74], v[14:15], v[166:167]
	v_add_f64 v[81:82], v[164:165], -v[168:169]
	v_add_f64 v[158:159], v[73:74], v[170:171]
	v_add_f64 v[73:74], v[166:167], v[170:171]
	v_fma_f64 v[73:74], v[73:74], -0.5, v[14:15]
	v_fma_f64 v[14:15], v[81:82], s[12:13], v[73:74]
	v_fma_f64 v[162:163], v[81:82], s[2:3], v[73:74]
	v_add_f64 v[73:74], v[8:9], v[40:41]
	v_add_f64 v[81:82], v[42:43], -v[172:173]
	v_add_f64 v[164:165], v[73:74], v[44:45]
	v_add_f64 v[73:74], v[40:41], v[44:45]
	v_add_f64 v[40:41], v[40:41], -v[44:45]
	v_add_f64 v[44:45], v[34:35], -v[38:39]
	v_fma_f64 v[73:74], v[73:74], -0.5, v[8:9]
	v_fma_f64 v[8:9], v[81:82], s[2:3], v[73:74]
	v_fma_f64 v[168:169], v[81:82], s[12:13], v[73:74]
	v_add_f64 v[73:74], v[10:11], v[42:43]
	v_add_f64 v[42:43], v[42:43], v[172:173]
	;; [unrolled: 1-line block ×3, first 2 shown]
	v_fma_f64 v[42:43], v[42:43], -0.5, v[10:11]
	v_fma_f64 v[10:11], v[40:41], s[12:13], v[42:43]
	v_fma_f64 v[170:171], v[40:41], s[2:3], v[42:43]
	v_add_f64 v[42:43], v[32:33], v[36:37]
	v_add_f64 v[40:41], v[4:5], v[32:33]
	v_add_f64 v[32:33], v[32:33], -v[36:37]
	v_fma_f64 v[42:43], v[42:43], -0.5, v[4:5]
	v_add_f64 v[40:41], v[40:41], v[36:37]
	v_add_f64 v[36:37], v[178:179], -v[182:183]
	v_fma_f64 v[4:5], v[44:45], s[2:3], v[42:43]
	v_fma_f64 v[172:173], v[44:45], s[12:13], v[42:43]
	v_add_f64 v[42:43], v[6:7], v[34:35]
	v_add_f64 v[34:35], v[34:35], v[38:39]
	v_add_f64 v[44:45], v[176:177], -v[180:181]
	v_add_f64 v[42:43], v[42:43], v[38:39]
	v_fma_f64 v[34:35], v[34:35], -0.5, v[6:7]
	v_add_f64 v[38:39], v[178:179], v[182:183]
	v_fma_f64 v[6:7], v[32:33], s[12:13], v[34:35]
	v_fma_f64 v[174:175], v[32:33], s[2:3], v[34:35]
	v_add_f64 v[34:35], v[176:177], v[180:181]
	v_fma_f64 v[38:39], v[38:39], -0.5, v[2:3]
	v_add_f64 v[32:33], v[0:1], v[176:177]
	v_fma_f64 v[34:35], v[34:35], -0.5, v[0:1]
	v_add_f64 v[32:33], v[32:33], v[180:181]
	v_fma_f64 v[0:1], v[36:37], s[2:3], v[34:35]
	v_fma_f64 v[36:37], v[36:37], s[12:13], v[34:35]
	v_add_f64 v[34:35], v[2:3], v[178:179]
	v_fma_f64 v[2:3], v[44:45], s[12:13], v[38:39]
	v_fma_f64 v[38:39], v[44:45], s[2:3], v[38:39]
	v_mul_u32_u24_e32 v44, 0x63, v47
	v_add_lshl_u32 v44, v44, v48, 4
	ds_write_b128 v44, v[24:27]
	ds_write_b128 v44, v[20:23] offset:528
	v_mul_u32_u24_e32 v20, 0x63, v49
	v_add_lshl_u32 v20, v20, v50, 4
	v_add_f64 v[34:35], v[34:35], v[182:183]
	buffer_store_dword v44, off, s[44:47], 0 offset:556 ; 4-byte Folded Spill
	ds_write_b128 v44, v[28:31] offset:1056
	ds_write_b128 v20, v[59:62]
	ds_write_b128 v20, v[16:19] offset:528
	v_mad_legacy_u16 v16, v51, s14, v52
	v_lshlrev_b32_e32 v16, 4, v16
	buffer_store_dword v20, off, s[44:47], 0 offset:564 ; 4-byte Folded Spill
	ds_write_b128 v20, v[69:72] offset:1056
	ds_write_b128 v16, v[156:159]
	ds_write_b128 v16, v[12:15] offset:528
	v_mad_legacy_u16 v12, v53, s14, v54
	v_lshlrev_b32_e32 v132, 4, v12
	buffer_store_dword v16, off, s[44:47], 0 offset:524 ; 4-byte Folded Spill
	ds_write_b128 v16, v[160:163] offset:1056
	ds_write_b128 v132, v[164:167]
	ds_write_b128 v132, v[8:11] offset:528
	ds_write_b128 v132, v[168:171] offset:1056
	v_mad_legacy_u16 v8, v55, s14, v56
	v_lshlrev_b32_e32 v8, 4, v8
	ds_write_b128 v8, v[40:43]
	ds_write_b128 v8, v[4:7] offset:528
	v_mad_legacy_u16 v4, v57, s14, v58
	v_lshlrev_b32_e32 v4, 4, v4
	buffer_store_dword v8, off, s[44:47], 0 offset:552 ; 4-byte Folded Spill
	ds_write_b128 v8, v[172:175] offset:1056
	ds_write_b128 v4, v[32:35]
	ds_write_b128 v4, v[0:3] offset:528
	buffer_store_dword v4, off, s[44:47], 0 offset:560 ; 4-byte Folded Spill
	ds_write_b128 v4, v[36:39] offset:1056
	s_waitcnt vmcnt(0) lgkmcnt(0)
	s_barrier
	ds_read_b128 v[20:23], v94
	ds_read_b128 v[32:35], v94 offset:9504
	ds_read_b128 v[36:39], v94 offset:19008
	;; [unrolled: 1-line block ×17, first 2 shown]
	buffer_store_dword v236, off, s[44:47], 0 offset:72 ; 4-byte Folded Spill
	v_lshlrev_b32_e32 v44, 5, v236
	global_load_dwordx4 v[156:159], v44, s[4:5] offset:1424
	global_load_dwordx4 v[160:163], v44, s[4:5] offset:1408
	v_add_co_u32_e64 v47, s[0:1], s4, v44
	s_mov_b32 s5, 0xa57f
	v_addc_co_u32_e64 v48, s[0:1], 0, v46, s[0:1]
	s_movk_i32 s14, 0x11e0
	s_waitcnt vmcnt(0) lgkmcnt(14)
	v_mul_f64 v[44:45], v[34:35], v[162:163]
	v_fma_f64 v[61:62], v[32:33], v[160:161], -v[44:45]
	v_mul_f64 v[32:33], v[32:33], v[162:163]
	v_fma_f64 v[73:74], v[34:35], v[160:161], v[32:33]
	v_mul_f64 v[32:33], v[38:39], v[158:159]
	v_fma_f64 v[81:82], v[36:37], v[156:157], -v[32:33]
	v_mul_f64 v[32:33], v[36:37], v[158:159]
	v_fma_f64 v[83:84], v[38:39], v[156:157], v[32:33]
	s_waitcnt lgkmcnt(13)
	v_mul_f64 v[32:33], v[42:43], v[162:163]
	v_fma_f64 v[85:86], v[40:41], v[160:161], -v[32:33]
	v_mul_f64 v[32:33], v[40:41], v[162:163]
	v_fma_f64 v[196:197], v[42:43], v[160:161], v[32:33]
	s_waitcnt lgkmcnt(12)
	v_mul_f64 v[32:33], v[51:52], v[158:159]
	v_fma_f64 v[198:199], v[49:50], v[156:157], -v[32:33]
	v_mul_f64 v[32:33], v[49:50], v[158:159]
	v_fma_f64 v[200:201], v[51:52], v[156:157], v[32:33]
	v_mul_u32_u24_sdwa v32, v65, s5 dst_sel:DWORD dst_unused:UNUSED_PAD src0_sel:WORD_0 src1_sel:DWORD
	v_lshrrev_b32_e32 v32, 22, v32
	v_mul_lo_u16_e32 v32, 0x63, v32
	v_sub_u16_e32 v49, v65, v32
	v_lshlrev_b16_e32 v32, 5, v49
	v_add_co_u32_e64 v32, s[0:1], s4, v32
	v_addc_co_u32_e64 v33, s[0:1], 0, v46, s[0:1]
	global_load_dwordx4 v[164:167], v[32:33], off offset:1424
	global_load_dwordx4 v[168:171], v[32:33], off offset:1408
	v_mul_u32_u24_sdwa v52, v66, s5 dst_sel:DWORD dst_unused:UNUSED_PAD src0_sel:WORD_0 src1_sel:DWORD
	v_lshrrev_b32_e32 v52, 22, v52
	v_mul_lo_u16_e32 v52, 0x63, v52
	v_sub_u16_e32 v52, v66, v52
	s_waitcnt vmcnt(0) lgkmcnt(10)
	v_mul_f64 v[32:33], v[55:56], v[170:171]
	v_fma_f64 v[202:203], v[53:54], v[168:169], -v[32:33]
	v_mul_f64 v[32:33], v[53:54], v[170:171]
	v_lshlrev_b16_e32 v53, 5, v52
	v_fma_f64 v[204:205], v[55:56], v[168:169], v[32:33]
	s_waitcnt lgkmcnt(9)
	v_mul_f64 v[32:33], v[59:60], v[166:167]
	v_add_f64 v[55:56], v[85:86], v[198:199]
	v_fma_f64 v[206:207], v[57:58], v[164:165], -v[32:33]
	v_mul_f64 v[32:33], v[57:58], v[166:167]
	v_fma_f64 v[55:56], v[55:56], -0.5, v[16:17]
	v_add_f64 v[57:58], v[196:197], -v[200:201]
	v_fma_f64 v[208:209], v[59:60], v[164:165], v[32:33]
	v_mul_u32_u24_sdwa v32, v68, s5 dst_sel:DWORD dst_unused:UNUSED_PAD src0_sel:WORD_0 src1_sel:DWORD
	v_lshrrev_b32_e32 v32, 22, v32
	v_mul_lo_u16_e32 v32, 0x63, v32
	v_sub_u16_e32 v50, v68, v32
	v_lshlrev_b16_e32 v32, 5, v50
	v_add_co_u32_e64 v32, s[0:1], s4, v32
	v_addc_co_u32_e64 v33, s[0:1], 0, v46, s[0:1]
	global_load_dwordx4 v[172:175], v[32:33], off offset:1424
	global_load_dwordx4 v[176:179], v[32:33], off offset:1408
	v_add_f64 v[59:60], v[196:197], v[200:201]
	v_fma_f64 v[59:60], v[59:60], -0.5, v[18:19]
	s_waitcnt vmcnt(0) lgkmcnt(7)
	v_mul_f64 v[32:33], v[71:72], v[178:179]
	v_fma_f64 v[40:41], v[69:70], v[176:177], -v[32:33]
	v_mul_f64 v[32:33], v[69:70], v[178:179]
	v_add_f64 v[68:69], v[204:205], -v[208:209]
	v_fma_f64 v[44:45], v[71:72], v[176:177], v[32:33]
	s_waitcnt lgkmcnt(6)
	v_mul_f64 v[32:33], v[182:183], v[174:175]
	v_fma_f64 v[42:43], v[180:181], v[172:173], -v[32:33]
	v_mul_f64 v[32:33], v[180:181], v[174:175]
	v_fma_f64 v[210:211], v[182:183], v[172:173], v[32:33]
	v_mul_u32_u24_sdwa v32, v67, s5 dst_sel:DWORD dst_unused:UNUSED_PAD src0_sel:WORD_0 src1_sel:DWORD
	v_lshrrev_b32_e32 v32, 22, v32
	v_mul_lo_u16_e32 v32, 0x63, v32
	v_sub_u16_e32 v51, v67, v32
	v_lshlrev_b16_e32 v32, 5, v51
	v_add_co_u32_e64 v32, s[0:1], s4, v32
	v_addc_co_u32_e64 v33, s[0:1], 0, v46, s[0:1]
	global_load_dwordx4 v[252:255], v[32:33], off offset:1424
	global_load_dwordx4 v[184:187], v[32:33], off offset:1408
	v_add_co_u32_e64 v53, s[0:1], s4, v53
	v_addc_co_u32_e64 v54, s[0:1], 0, v46, s[0:1]
	s_movk_i32 s5, 0x1000
	s_waitcnt vmcnt(1) lgkmcnt(3)
	v_mul_f64 v[36:37], v[194:195], v[254:255]
	s_waitcnt vmcnt(0)
	v_mul_f64 v[32:33], v[190:191], v[186:187]
	v_mul_f64 v[34:35], v[188:189], v[186:187]
	;; [unrolled: 1-line block ×3, first 2 shown]
	v_fma_f64 v[36:37], v[192:193], v[252:253], -v[36:37]
	v_fma_f64 v[32:33], v[188:189], v[184:185], -v[32:33]
	v_fma_f64 v[34:35], v[190:191], v[184:185], v[34:35]
	v_fma_f64 v[38:39], v[194:195], v[252:253], v[38:39]
	global_load_dwordx4 v[188:191], v[53:54], off offset:1424
	global_load_dwordx4 v[192:195], v[53:54], off offset:1408
	s_waitcnt vmcnt(0) lgkmcnt(0)
	s_barrier
	v_mul_f64 v[53:54], v[30:31], v[194:195]
	v_fma_f64 v[212:213], v[28:29], v[192:193], -v[53:54]
	v_mul_f64 v[28:29], v[28:29], v[194:195]
	v_add_f64 v[53:54], v[61:62], -v[81:82]
	v_fma_f64 v[216:217], v[30:31], v[192:193], v[28:29]
	v_mul_f64 v[28:29], v[26:27], v[190:191]
	v_add_f64 v[30:31], v[73:74], v[83:84]
	v_fma_f64 v[218:219], v[24:25], v[188:189], -v[28:29]
	v_mul_f64 v[24:25], v[24:25], v[190:191]
	v_add_f64 v[28:29], v[73:74], -v[83:84]
	v_fma_f64 v[30:31], v[30:31], -0.5, v[22:23]
	v_fma_f64 v[220:221], v[26:27], v[188:189], v[24:25]
	v_add_f64 v[26:27], v[61:62], v[81:82]
	v_add_f64 v[24:25], v[20:21], v[61:62]
	v_add_f64 v[61:62], v[85:86], -v[198:199]
	v_fma_f64 v[26:27], v[26:27], -0.5, v[20:21]
	v_add_f64 v[24:25], v[24:25], v[81:82]
	v_fma_f64 v[20:21], v[28:29], s[2:3], v[26:27]
	v_fma_f64 v[28:29], v[28:29], s[12:13], v[26:27]
	v_add_f64 v[26:27], v[22:23], v[73:74]
	v_fma_f64 v[22:23], v[53:54], s[12:13], v[30:31]
	v_fma_f64 v[30:31], v[53:54], s[2:3], v[30:31]
	;; [unrolled: 3-line block ×4, first 2 shown]
	v_add_f64 v[61:62], v[12:13], v[202:203]
	v_add_f64 v[72:73], v[202:203], -v[206:207]
	v_add_f64 v[74:75], v[44:45], -v[210:211]
	v_add_f64 v[26:27], v[26:27], v[83:84]
	v_add_f64 v[53:54], v[53:54], v[198:199]
	;; [unrolled: 1-line block ×3, first 2 shown]
	ds_write_b128 v94, v[24:27]
	ds_write_b128 v94, v[20:23] offset:1584
	ds_write_b128 v94, v[28:31] offset:3168
	ds_write_b128 v94, v[53:56] offset:4752
	ds_write_b128 v94, v[16:19] offset:6336
	ds_write_b128 v94, v[57:60] offset:7920
	v_add_f64 v[66:67], v[61:62], v[206:207]
	v_add_f64 v[61:62], v[202:203], v[206:207]
	v_lshlrev_b32_e32 v16, 4, v49
	v_fma_f64 v[61:62], v[61:62], -0.5, v[12:13]
	v_fma_f64 v[12:13], v[68:69], s[2:3], v[61:62]
	v_fma_f64 v[70:71], v[68:69], s[12:13], v[61:62]
	v_add_f64 v[61:62], v[14:15], v[204:205]
	v_add_f64 v[68:69], v[61:62], v[208:209]
	;; [unrolled: 1-line block ×3, first 2 shown]
	v_fma_f64 v[61:62], v[61:62], -0.5, v[14:15]
	v_fma_f64 v[14:15], v[72:73], s[12:13], v[61:62]
	v_fma_f64 v[72:73], v[72:73], s[2:3], v[61:62]
	v_add_f64 v[61:62], v[8:9], v[40:41]
	ds_write_b128 v16, v[66:69] offset:9504
	ds_write_b128 v16, v[12:15] offset:11088
	v_lshlrev_b32_e32 v12, 4, v50
	buffer_store_dword v16, off, s[44:47], 0 offset:528 ; 4-byte Folded Spill
	v_add_f64 v[196:197], v[61:62], v[42:43]
	v_add_f64 v[61:62], v[40:41], v[42:43]
	v_add_f64 v[40:41], v[40:41], -v[42:43]
	v_add_f64 v[42:43], v[32:33], v[36:37]
	ds_write_b128 v16, v[70:73] offset:12672
	v_fma_f64 v[61:62], v[61:62], -0.5, v[8:9]
	v_fma_f64 v[42:43], v[42:43], -0.5, v[4:5]
	v_fma_f64 v[8:9], v[74:75], s[2:3], v[61:62]
	v_fma_f64 v[200:201], v[74:75], s[12:13], v[61:62]
	v_add_f64 v[61:62], v[10:11], v[44:45]
	v_add_f64 v[44:45], v[44:45], v[210:211]
	;; [unrolled: 1-line block ×3, first 2 shown]
	v_fma_f64 v[44:45], v[44:45], -0.5, v[10:11]
	v_fma_f64 v[10:11], v[40:41], s[12:13], v[44:45]
	v_fma_f64 v[202:203], v[40:41], s[2:3], v[44:45]
	v_add_f64 v[44:45], v[34:35], -v[38:39]
	v_add_f64 v[40:41], v[4:5], v[32:33]
	v_add_f64 v[32:33], v[32:33], -v[36:37]
	ds_write_b128 v12, v[196:199] offset:14256
	ds_write_b128 v12, v[8:11] offset:15840
	v_lshlrev_b32_e32 v8, 4, v51
	buffer_store_dword v12, off, s[44:47], 0 offset:532 ; 4-byte Folded Spill
	v_fma_f64 v[4:5], v[44:45], s[2:3], v[42:43]
	v_fma_f64 v[204:205], v[44:45], s[12:13], v[42:43]
	v_add_f64 v[42:43], v[6:7], v[34:35]
	v_add_f64 v[34:35], v[34:35], v[38:39]
	;; [unrolled: 1-line block ×3, first 2 shown]
	v_add_f64 v[36:37], v[216:217], -v[220:221]
	v_add_f64 v[44:45], v[212:213], -v[218:219]
	ds_write_b128 v12, v[200:203] offset:17424
	v_add_f64 v[42:43], v[42:43], v[38:39]
	v_fma_f64 v[34:35], v[34:35], -0.5, v[6:7]
	v_add_f64 v[38:39], v[216:217], v[220:221]
	v_fma_f64 v[6:7], v[32:33], s[12:13], v[34:35]
	v_fma_f64 v[206:207], v[32:33], s[2:3], v[34:35]
	v_add_f64 v[34:35], v[212:213], v[218:219]
	v_add_f64 v[32:33], v[0:1], v[212:213]
	v_fma_f64 v[38:39], v[38:39], -0.5, v[2:3]
	ds_write_b128 v8, v[40:43] offset:19008
	ds_write_b128 v8, v[4:7] offset:20592
	v_lshlrev_b32_e32 v4, 4, v52
	buffer_store_dword v8, off, s[44:47], 0 offset:536 ; 4-byte Folded Spill
	v_fma_f64 v[34:35], v[34:35], -0.5, v[0:1]
	v_add_f64 v[32:33], v[32:33], v[218:219]
	ds_write_b128 v8, v[204:207] offset:22176
	v_fma_f64 v[0:1], v[36:37], s[2:3], v[34:35]
	v_fma_f64 v[36:37], v[36:37], s[12:13], v[34:35]
	v_add_f64 v[34:35], v[2:3], v[216:217]
	v_fma_f64 v[2:3], v[44:45], s[12:13], v[38:39]
	v_fma_f64 v[38:39], v[44:45], s[2:3], v[38:39]
	v_add_co_u32_e64 v44, s[0:1], s14, v47
	v_addc_co_u32_e64 v45, s[0:1], 0, v48, s[0:1]
	v_add_co_u32_e64 v47, s[0:1], s5, v47
	v_add_f64 v[34:35], v[34:35], v[220:221]
	v_addc_co_u32_e64 v48, s[0:1], 0, v48, s[0:1]
	ds_write_b128 v4, v[32:35] offset:23760
	ds_write_b128 v4, v[0:3] offset:25344
	buffer_store_dword v4, off, s[44:47], 0 offset:540 ; 4-byte Folded Spill
	ds_write_b128 v4, v[36:39] offset:26928
	s_waitcnt vmcnt(0) lgkmcnt(0)
	s_barrier
	ds_read_b128 v[20:23], v94
	ds_read_b128 v[24:27], v94 offset:9504
	ds_read_b128 v[28:31], v94 offset:19008
	;; [unrolled: 1-line block ×17, first 2 shown]
	global_load_dwordx4 v[200:203], v[47:48], off offset:480
	global_load_dwordx4 v[196:199], v[44:45], off offset:16
	s_waitcnt vmcnt(1) lgkmcnt(14)
	v_mul_f64 v[44:45], v[26:27], v[202:203]
	v_fma_f64 v[44:45], v[24:25], v[200:201], -v[44:45]
	v_mul_f64 v[24:25], v[24:25], v[202:203]
	v_fma_f64 v[47:48], v[26:27], v[200:201], v[24:25]
	s_waitcnt vmcnt(0)
	v_mul_f64 v[24:25], v[30:31], v[198:199]
	v_fma_f64 v[61:62], v[28:29], v[196:197], -v[24:25]
	v_mul_f64 v[24:25], v[28:29], v[198:199]
	v_fma_f64 v[30:31], v[30:31], v[196:197], v[24:25]
	v_lshlrev_b32_e32 v24, 5, v215
	v_add_co_u32_e64 v26, s[0:1], s4, v24
	v_addc_co_u32_e64 v27, s[0:1], 0, v46, s[0:1]
	v_add_co_u32_e64 v24, s[0:1], s14, v26
	v_addc_co_u32_e64 v25, s[0:1], 0, v27, s[0:1]
	;; [unrolled: 2-line block ×3, first 2 shown]
	global_load_dwordx4 v[208:211], v[26:27], off offset:480
	global_load_dwordx4 v[204:207], v[24:25], off offset:16
	v_add_f64 v[28:29], v[47:48], -v[30:31]
	s_waitcnt vmcnt(1) lgkmcnt(13)
	v_mul_f64 v[24:25], v[34:35], v[210:211]
	v_fma_f64 v[74:75], v[32:33], v[208:209], -v[24:25]
	v_mul_f64 v[24:25], v[32:33], v[210:211]
	v_add_f64 v[32:33], v[44:45], -v[61:62]
	v_fma_f64 v[81:82], v[34:35], v[208:209], v[24:25]
	s_waitcnt vmcnt(0) lgkmcnt(12)
	v_mul_f64 v[24:25], v[38:39], v[206:207]
	v_fma_f64 v[83:84], v[36:37], v[204:205], -v[24:25]
	v_mul_f64 v[24:25], v[36:37], v[206:207]
	v_add_f64 v[34:35], v[74:75], v[83:84]
	v_fma_f64 v[38:39], v[38:39], v[204:205], v[24:25]
	v_lshlrev_b32_e32 v24, 5, v65
	v_add_co_u32_e64 v26, s[0:1], s4, v24
	v_addc_co_u32_e64 v27, s[0:1], 0, v46, s[0:1]
	v_add_co_u32_e64 v24, s[0:1], s14, v26
	v_addc_co_u32_e64 v25, s[0:1], 0, v27, s[0:1]
	;; [unrolled: 2-line block ×3, first 2 shown]
	global_load_dwordx4 v[216:219], v[26:27], off offset:480
	global_load_dwordx4 v[212:215], v[24:25], off offset:16
	v_add_f64 v[26:27], v[44:45], v[61:62]
	v_fma_f64 v[34:35], v[34:35], -0.5, v[16:17]
	v_add_f64 v[36:37], v[81:82], -v[38:39]
	v_add_co_u32_e64 v63, s[0:1], s4, v94
	v_addc_co_u32_e64 v46, s[0:1], 0, v46, s[0:1]
	s_movk_i32 s14, 0x3000
	v_fma_f64 v[26:27], v[26:27], -0.5, v[20:21]
	s_waitcnt vmcnt(0) lgkmcnt(0)
	s_barrier
	s_movk_i32 s4, 0x5000
	v_mul_f64 v[24:25], v[42:43], v[218:219]
	v_fma_f64 v[228:229], v[40:41], v[216:217], -v[24:25]
	v_mul_f64 v[24:25], v[40:41], v[218:219]
	v_add_f64 v[40:41], v[74:75], -v[83:84]
	v_fma_f64 v[230:231], v[42:43], v[216:217], v[24:25]
	v_mul_f64 v[24:25], v[51:52], v[214:215]
	v_fma_f64 v[232:233], v[49:50], v[212:213], -v[24:25]
	v_mul_f64 v[24:25], v[49:50], v[214:215]
	v_add_f64 v[42:43], v[228:229], v[232:233]
	v_fma_f64 v[49:50], v[51:52], v[212:213], v[24:25]
	v_mul_f64 v[24:25], v[55:56], v[202:203]
	v_fma_f64 v[42:43], v[42:43], -0.5, v[12:13]
	v_fma_f64 v[234:235], v[53:54], v[200:201], -v[24:25]
	v_mul_f64 v[24:25], v[53:54], v[202:203]
	v_fma_f64 v[236:237], v[55:56], v[200:201], v[24:25]
	v_mul_f64 v[24:25], v[59:60], v[198:199]
	v_fma_f64 v[238:239], v[57:58], v[196:197], -v[24:25]
	v_mul_f64 v[24:25], v[57:58], v[198:199]
	v_fma_f64 v[57:58], v[59:60], v[196:197], v[24:25]
	v_mul_f64 v[24:25], v[68:69], v[210:211]
	v_add_f64 v[53:54], v[236:237], -v[57:58]
	v_fma_f64 v[240:241], v[66:67], v[208:209], -v[24:25]
	v_mul_f64 v[24:25], v[66:67], v[210:211]
	v_fma_f64 v[67:68], v[68:69], v[208:209], v[24:25]
	v_mul_f64 v[24:25], v[72:73], v[206:207]
	v_fma_f64 v[242:243], v[70:71], v[204:205], -v[24:25]
	v_mul_f64 v[24:25], v[70:71], v[206:207]
	v_fma_f64 v[69:70], v[72:73], v[204:205], v[24:25]
	v_mul_f64 v[24:25], v[222:223], v[218:219]
	;; [unrolled: 4-line block ×3, first 2 shown]
	v_fma_f64 v[246:247], v[224:225], v[212:213], -v[24:25]
	v_mul_f64 v[24:25], v[224:225], v[214:215]
	v_fma_f64 v[224:225], v[226:227], v[212:213], v[24:25]
	v_add_f64 v[24:25], v[20:21], v[44:45]
	v_fma_f64 v[20:21], v[28:29], s[2:3], v[26:27]
	v_fma_f64 v[28:29], v[28:29], s[12:13], v[26:27]
	v_add_f64 v[26:27], v[22:23], v[47:48]
	v_add_f64 v[44:45], v[230:231], -v[49:50]
	v_add_f64 v[71:72], v[222:223], -v[224:225]
	v_add_f64 v[24:25], v[24:25], v[61:62]
	v_add_f64 v[61:62], v[67:68], -v[69:70]
	v_add_f64 v[26:27], v[26:27], v[30:31]
	v_add_f64 v[30:31], v[47:48], v[30:31]
	v_fma_f64 v[47:48], v[44:45], s[12:13], v[42:43]
	v_fma_f64 v[30:31], v[30:31], -0.5, v[22:23]
	v_fma_f64 v[22:23], v[32:33], s[12:13], v[30:31]
	v_fma_f64 v[30:31], v[32:33], s[2:3], v[30:31]
	v_add_f64 v[32:33], v[16:17], v[74:75]
	v_fma_f64 v[16:17], v[36:37], s[2:3], v[34:35]
	v_fma_f64 v[36:37], v[36:37], s[12:13], v[34:35]
	v_add_f64 v[34:35], v[18:19], v[81:82]
	v_add_f64 v[73:74], v[244:245], -v[246:247]
	v_add_f64 v[32:33], v[32:33], v[83:84]
	v_add_f64 v[34:35], v[34:35], v[38:39]
	;; [unrolled: 1-line block ×3, first 2 shown]
	v_fma_f64 v[38:39], v[38:39], -0.5, v[18:19]
	v_fma_f64 v[18:19], v[40:41], s[12:13], v[38:39]
	v_fma_f64 v[38:39], v[40:41], s[2:3], v[38:39]
	v_add_f64 v[40:41], v[12:13], v[228:229]
	v_fma_f64 v[12:13], v[44:45], s[2:3], v[42:43]
	v_add_f64 v[42:43], v[14:15], v[230:231]
	v_add_f64 v[44:45], v[230:231], v[49:50]
	;; [unrolled: 1-line block ×4, first 2 shown]
	v_fma_f64 v[44:45], v[44:45], -0.5, v[14:15]
	v_add_f64 v[49:50], v[228:229], -v[232:233]
	v_fma_f64 v[14:15], v[49:50], s[12:13], v[44:45]
	v_fma_f64 v[49:50], v[49:50], s[2:3], v[44:45]
	v_add_f64 v[44:45], v[8:9], v[234:235]
	v_add_f64 v[51:52], v[44:45], v[238:239]
	;; [unrolled: 1-line block ×3, first 2 shown]
	v_fma_f64 v[44:45], v[44:45], -0.5, v[8:9]
	v_fma_f64 v[8:9], v[53:54], s[2:3], v[44:45]
	v_fma_f64 v[55:56], v[53:54], s[12:13], v[44:45]
	v_add_f64 v[44:45], v[10:11], v[236:237]
	v_add_f64 v[53:54], v[44:45], v[57:58]
	;; [unrolled: 1-line block ×3, first 2 shown]
	v_add_f64 v[57:58], v[234:235], -v[238:239]
	v_fma_f64 v[44:45], v[44:45], -0.5, v[10:11]
	v_fma_f64 v[10:11], v[57:58], s[12:13], v[44:45]
	v_fma_f64 v[57:58], v[57:58], s[2:3], v[44:45]
	v_add_f64 v[44:45], v[4:5], v[240:241]
	v_add_f64 v[59:60], v[44:45], v[242:243]
	;; [unrolled: 1-line block ×3, first 2 shown]
	v_fma_f64 v[44:45], v[44:45], -0.5, v[4:5]
	v_fma_f64 v[4:5], v[61:62], s[2:3], v[44:45]
	v_fma_f64 v[65:66], v[61:62], s[12:13], v[44:45]
	v_add_f64 v[44:45], v[6:7], v[67:68]
	v_add_f64 v[61:62], v[44:45], v[69:70]
	;; [unrolled: 1-line block ×3, first 2 shown]
	v_add_f64 v[67:68], v[240:241], -v[242:243]
	v_fma_f64 v[44:45], v[44:45], -0.5, v[6:7]
	v_fma_f64 v[6:7], v[67:68], s[12:13], v[44:45]
	v_fma_f64 v[67:68], v[67:68], s[2:3], v[44:45]
	v_add_f64 v[44:45], v[0:1], v[244:245]
	v_add_f64 v[69:70], v[44:45], v[246:247]
	;; [unrolled: 1-line block ×3, first 2 shown]
	v_fma_f64 v[44:45], v[44:45], -0.5, v[0:1]
	v_fma_f64 v[0:1], v[71:72], s[2:3], v[44:45]
	v_fma_f64 v[220:221], v[71:72], s[12:13], v[44:45]
	v_add_f64 v[44:45], v[2:3], v[222:223]
	v_add_f64 v[71:72], v[44:45], v[224:225]
	;; [unrolled: 1-line block ×3, first 2 shown]
	v_fma_f64 v[44:45], v[44:45], -0.5, v[2:3]
	v_fma_f64 v[2:3], v[73:74], s[12:13], v[44:45]
	v_fma_f64 v[222:223], v[73:74], s[2:3], v[44:45]
	v_add_co_u32_e64 v44, s[0:1], s14, v63
	v_addc_co_u32_e64 v45, s[0:1], 0, v46, s[0:1]
	ds_write_b128 v94, v[24:27]
	ds_write_b128 v94, v[20:23] offset:4752
	ds_write_b128 v94, v[28:31] offset:9504
	;; [unrolled: 1-line block ×17, first 2 shown]
	s_waitcnt lgkmcnt(0)
	s_barrier
	ds_read_b128 v[20:23], v94
	ds_read_b128 v[28:31], v94 offset:14256
	ds_read_b128 v[32:35], v94 offset:1584
	;; [unrolled: 1-line block ×17, first 2 shown]
	global_load_dwordx4 v[220:223], v[44:45], off offset:1792
	global_load_dwordx4 v[224:227], v[44:45], off offset:3376
	s_movk_i32 s12, 0x4000
	s_movk_i32 s13, 0x6000
	s_waitcnt vmcnt(1) lgkmcnt(14)
	v_mul_f64 v[73:74], v[30:31], v[222:223]
	v_fma_f64 v[73:74], v[28:29], v[220:221], -v[73:74]
	v_mul_f64 v[28:29], v[28:29], v[222:223]
	v_fma_f64 v[30:31], v[30:31], v[220:221], v[28:29]
	s_waitcnt vmcnt(0)
	v_mul_f64 v[28:29], v[38:39], v[226:227]
	v_add_f64 v[30:31], v[22:23], -v[30:31]
	v_fma_f64 v[44:45], v[36:37], v[224:225], -v[28:29]
	v_mul_f64 v[28:29], v[36:37], v[226:227]
	v_add_f64 v[44:45], v[32:33], -v[44:45]
	v_fma_f64 v[85:86], v[38:39], v[224:225], v[28:29]
	v_add_co_u32_e64 v28, s[0:1], s12, v63
	v_addc_co_u32_e64 v29, s[0:1], 0, v46, s[0:1]
	global_load_dwordx4 v[236:239], v[28:29], off offset:4032
	global_load_dwordx4 v[228:231], v[28:29], off offset:864
	;; [unrolled: 1-line block ×3, first 2 shown]
	v_fma_f64 v[38:39], v[22:23], 2.0, -v[30:31]
	v_fma_f64 v[32:33], v[32:33], 2.0, -v[44:45]
	s_waitcnt vmcnt(2) lgkmcnt(8)
	v_mul_f64 v[28:29], v[57:58], v[238:239]
	s_waitcnt vmcnt(1)
	v_mul_f64 v[36:37], v[49:50], v[230:231]
	v_fma_f64 v[95:96], v[55:56], v[236:237], -v[28:29]
	v_mul_f64 v[28:29], v[55:56], v[238:239]
	v_fma_f64 v[87:88], v[47:48], v[228:229], -v[36:37]
	v_mul_f64 v[36:37], v[47:48], v[230:231]
	v_fma_f64 v[98:99], v[57:58], v[236:237], v[28:29]
	v_add_co_u32_e64 v28, s[0:1], s4, v63
	v_addc_co_u32_e64 v29, s[0:1], 0, v46, s[0:1]
	global_load_dwordx4 v[240:243], v[28:29], off offset:1520
	global_load_dwordx4 v[141:144], v[28:29], off offset:3104
	v_fma_f64 v[90:91], v[49:50], v[228:229], v[36:37]
	s_waitcnt vmcnt(2)
	v_mul_f64 v[36:37], v[53:54], v[234:235]
	v_add_f64 v[48:49], v[40:41], -v[87:88]
	v_fma_f64 v[77:78], v[51:52], v[232:233], -v[36:37]
	v_mul_f64 v[36:37], v[51:52], v[234:235]
	v_add_f64 v[50:51], v[42:43], -v[90:91]
	v_fma_f64 v[40:41], v[40:41], 2.0, -v[48:49]
	v_fma_f64 v[79:80], v[53:54], v[232:233], v[36:37]
	v_add_f64 v[52:53], v[12:13], -v[77:78]
	v_fma_f64 v[42:43], v[42:43], 2.0, -v[50:51]
	v_add_f64 v[54:55], v[14:15], -v[79:80]
	v_fma_f64 v[56:57], v[12:13], 2.0, -v[52:53]
	s_waitcnt vmcnt(1) lgkmcnt(6)
	v_mul_f64 v[36:37], v[61:62], v[242:243]
	s_waitcnt vmcnt(0) lgkmcnt(4)
	v_mul_f64 v[28:29], v[67:68], v[143:144]
	v_fma_f64 v[100:101], v[59:60], v[240:241], -v[36:37]
	v_fma_f64 v[104:105], v[65:66], v[141:142], -v[28:29]
	v_mul_f64 v[28:29], v[65:66], v[143:144]
	v_mul_f64 v[36:37], v[59:60], v[242:243]
	v_fma_f64 v[58:59], v[14:15], 2.0, -v[54:55]
	v_fma_f64 v[106:107], v[67:68], v[141:142], v[28:29]
	v_add_co_u32_e64 v28, s[0:1], s13, v63
	v_addc_co_u32_e64 v29, s[0:1], 0, v46, s[0:1]
	global_load_dwordx4 v[244:247], v[28:29], off offset:592
	global_load_dwordx4 v[248:251], v[28:29], off offset:2176
	v_fma_f64 v[102:103], v[61:62], v[240:241], v[36:37]
	v_add_f64 v[60:61], v[0:1], -v[95:96]
	v_add_f64 v[62:63], v[2:3], -v[98:99]
	;; [unrolled: 1-line block ×3, first 2 shown]
	s_movk_i32 s0, 0x6f60
	v_fma_f64 v[65:66], v[0:1], 2.0, -v[60:61]
	v_fma_f64 v[67:68], v[2:3], 2.0, -v[62:63]
	v_add_f64 v[0:1], v[4:5], -v[100:101]
	v_add_f64 v[2:3], v[6:7], -v[102:103]
	v_fma_f64 v[34:35], v[34:35], 2.0, -v[46:47]
	s_waitcnt vmcnt(1) lgkmcnt(2)
	v_mul_f64 v[36:37], v[71:72], v[246:247]
	s_waitcnt vmcnt(0) lgkmcnt(0)
	v_mul_f64 v[28:29], v[83:84], v[250:251]
	v_fma_f64 v[108:109], v[69:70], v[244:245], -v[36:37]
	v_mul_f64 v[36:37], v[69:70], v[246:247]
	v_fma_f64 v[112:113], v[81:82], v[248:249], -v[28:29]
	v_mul_f64 v[28:29], v[81:82], v[250:251]
	v_fma_f64 v[69:70], v[4:5], 2.0, -v[0:1]
	v_add_f64 v[4:5], v[8:9], -v[104:105]
	v_add_f64 v[12:13], v[16:17], -v[108:109]
	v_fma_f64 v[110:111], v[71:72], v[244:245], v[36:37]
	v_fma_f64 v[71:72], v[6:7], 2.0, -v[2:3]
	v_fma_f64 v[81:82], v[83:84], v[248:249], v[28:29]
	v_add_f64 v[28:29], v[20:21], -v[73:74]
	v_add_f64 v[6:7], v[10:11], -v[106:107]
	v_fma_f64 v[8:9], v[8:9], 2.0, -v[4:5]
	v_fma_f64 v[16:17], v[16:17], 2.0, -v[12:13]
	v_add_f64 v[14:15], v[18:19], -v[110:111]
	v_add_f64 v[22:23], v[26:27], -v[81:82]
	v_fma_f64 v[36:37], v[20:21], 2.0, -v[28:29]
	v_add_f64 v[20:21], v[24:25], -v[112:113]
	v_fma_f64 v[10:11], v[10:11], 2.0, -v[6:7]
	v_fma_f64 v[18:19], v[18:19], 2.0, -v[14:15]
	;; [unrolled: 1-line block ×4, first 2 shown]
	ds_write_b128 v94, v[36:39]
	ds_write_b128 v94, v[28:31] offset:14256
	ds_write_b128 v94, v[32:35] offset:1584
	;; [unrolled: 1-line block ×17, first 2 shown]
	v_add_co_u32_e64 v28, s[0:1], s0, v92
	v_addc_co_u32_e64 v29, s[0:1], 0, v64, s[0:1]
	v_add_co_u32_e64 v34, s[0:1], s13, v92
	v_addc_co_u32_e64 v35, s[0:1], 0, v64, s[0:1]
	s_waitcnt lgkmcnt(0)
	s_barrier
	global_load_dwordx4 v[34:37], v[34:35], off offset:3936
	ds_read_b128 v[30:33], v94
	s_mov_b32 s0, 0x8000
	v_add_co_u32_e64 v42, s[0:1], s0, v92
	v_addc_co_u32_e64 v43, s[0:1], 0, v64, s[0:1]
	s_mov_b32 s0, 0x9000
	s_waitcnt vmcnt(0) lgkmcnt(0)
	v_mul_f64 v[38:39], v[32:33], v[36:37]
	v_fma_f64 v[38:39], v[30:31], v[34:35], -v[38:39]
	v_mul_f64 v[30:31], v[30:31], v[36:37]
	v_fma_f64 v[40:41], v[32:33], v[34:35], v[30:31]
	global_load_dwordx4 v[34:37], v[28:29], off offset:2592
	ds_read_b128 v[30:33], v94 offset:2592
	ds_write_b128 v94, v[38:41]
	s_waitcnt vmcnt(0) lgkmcnt(1)
	v_mul_f64 v[38:39], v[32:33], v[36:37]
	v_fma_f64 v[38:39], v[30:31], v[34:35], -v[38:39]
	v_mul_f64 v[30:31], v[30:31], v[36:37]
	v_fma_f64 v[40:41], v[32:33], v[34:35], v[30:31]
	global_load_dwordx4 v[34:37], v[42:43], off offset:928
	ds_read_b128 v[30:33], v94 offset:5184
	ds_write_b128 v94, v[38:41] offset:2592
	s_waitcnt vmcnt(0) lgkmcnt(1)
	v_mul_f64 v[38:39], v[32:33], v[36:37]
	v_fma_f64 v[38:39], v[30:31], v[34:35], -v[38:39]
	v_mul_f64 v[30:31], v[30:31], v[36:37]
	v_fma_f64 v[40:41], v[32:33], v[34:35], v[30:31]
	global_load_dwordx4 v[34:37], v[42:43], off offset:3520
	ds_read_b128 v[30:33], v94 offset:7776
	ds_write_b128 v94, v[38:41] offset:5184
	s_waitcnt vmcnt(0) lgkmcnt(1)
	v_mul_f64 v[38:39], v[32:33], v[36:37]
	v_fma_f64 v[38:39], v[30:31], v[34:35], -v[38:39]
	v_mul_f64 v[30:31], v[30:31], v[36:37]
	v_fma_f64 v[40:41], v[32:33], v[34:35], v[30:31]
	v_add_co_u32_e64 v34, s[0:1], s0, v92
	v_addc_co_u32_e64 v35, s[0:1], 0, v64, s[0:1]
	global_load_dwordx4 v[34:37], v[34:35], off offset:2016
	ds_read_b128 v[30:33], v94 offset:10368
	s_mov_b32 s0, 0xa000
	ds_write_b128 v94, v[38:41] offset:7776
	v_add_co_u32_e64 v42, s[0:1], s0, v92
	v_addc_co_u32_e64 v43, s[0:1], 0, v64, s[0:1]
	s_mov_b32 s0, 0xb000
	s_waitcnt vmcnt(0) lgkmcnt(1)
	v_mul_f64 v[38:39], v[32:33], v[36:37]
	v_fma_f64 v[38:39], v[30:31], v[34:35], -v[38:39]
	v_mul_f64 v[30:31], v[30:31], v[36:37]
	v_fma_f64 v[40:41], v[32:33], v[34:35], v[30:31]
	global_load_dwordx4 v[34:37], v[42:43], off offset:512
	ds_read_b128 v[30:33], v94 offset:12960
	ds_write_b128 v94, v[38:41] offset:10368
	s_waitcnt vmcnt(0) lgkmcnt(1)
	v_mul_f64 v[38:39], v[32:33], v[36:37]
	v_fma_f64 v[38:39], v[30:31], v[34:35], -v[38:39]
	v_mul_f64 v[30:31], v[30:31], v[36:37]
	v_fma_f64 v[40:41], v[32:33], v[34:35], v[30:31]
	global_load_dwordx4 v[34:37], v[42:43], off offset:3104
	ds_read_b128 v[30:33], v94 offset:15552
	ds_write_b128 v94, v[38:41] offset:12960
	s_waitcnt vmcnt(0) lgkmcnt(1)
	v_mul_f64 v[38:39], v[32:33], v[36:37]
	v_fma_f64 v[38:39], v[30:31], v[34:35], -v[38:39]
	v_mul_f64 v[30:31], v[30:31], v[36:37]
	v_fma_f64 v[40:41], v[32:33], v[34:35], v[30:31]
	v_add_co_u32_e64 v34, s[0:1], s0, v92
	v_addc_co_u32_e64 v35, s[0:1], 0, v64, s[0:1]
	global_load_dwordx4 v[34:37], v[34:35], off offset:1600
	ds_read_b128 v[30:33], v94 offset:18144
	s_mov_b32 s0, 0xc000
	ds_write_b128 v94, v[38:41] offset:15552
	v_add_co_u32_e64 v42, s[0:1], s0, v92
	v_addc_co_u32_e64 v43, s[0:1], 0, v64, s[0:1]
	s_mov_b32 s0, 0xd000
	s_waitcnt vmcnt(0) lgkmcnt(1)
	v_mul_f64 v[38:39], v[32:33], v[36:37]
	v_fma_f64 v[38:39], v[30:31], v[34:35], -v[38:39]
	v_mul_f64 v[30:31], v[30:31], v[36:37]
	v_fma_f64 v[40:41], v[32:33], v[34:35], v[30:31]
	global_load_dwordx4 v[34:37], v[42:43], off offset:96
	ds_read_b128 v[30:33], v94 offset:20736
	ds_write_b128 v94, v[38:41] offset:18144
	s_waitcnt vmcnt(0) lgkmcnt(1)
	v_mul_f64 v[38:39], v[32:33], v[36:37]
	v_fma_f64 v[38:39], v[30:31], v[34:35], -v[38:39]
	v_mul_f64 v[30:31], v[30:31], v[36:37]
	v_fma_f64 v[40:41], v[32:33], v[34:35], v[30:31]
	global_load_dwordx4 v[34:37], v[42:43], off offset:2688
	ds_read_b128 v[30:33], v94 offset:23328
	ds_write_b128 v94, v[38:41] offset:20736
	s_waitcnt vmcnt(0) lgkmcnt(1)
	v_mul_f64 v[38:39], v[32:33], v[36:37]
	v_fma_f64 v[38:39], v[30:31], v[34:35], -v[38:39]
	v_mul_f64 v[30:31], v[30:31], v[36:37]
	v_fma_f64 v[40:41], v[32:33], v[34:35], v[30:31]
	v_add_co_u32_e64 v34, s[0:1], s0, v92
	v_addc_co_u32_e64 v35, s[0:1], 0, v64, s[0:1]
	global_load_dwordx4 v[34:37], v[34:35], off offset:1184
	ds_read_b128 v[30:33], v94 offset:25920
	ds_write_b128 v94, v[38:41] offset:23328
	s_waitcnt vmcnt(0) lgkmcnt(1)
	v_mul_f64 v[38:39], v[32:33], v[36:37]
	v_fma_f64 v[38:39], v[30:31], v[34:35], -v[38:39]
	v_mul_f64 v[30:31], v[30:31], v[36:37]
	v_fma_f64 v[40:41], v[32:33], v[34:35], v[30:31]
	ds_write_b128 v94, v[38:41] offset:25920
	s_and_saveexec_b64 s[2:3], vcc
	s_cbranch_execz .LBB0_9
; %bb.8:
	global_load_dwordx4 v[34:37], v[28:29], off offset:1584
	ds_read_b128 v[30:33], v94 offset:1584
	v_add_co_u32_e64 v42, s[0:1], s5, v28
	v_addc_co_u32_e64 v43, s[0:1], 0, v29, s[0:1]
	s_movk_i32 s0, 0x2000
	s_waitcnt vmcnt(0) lgkmcnt(0)
	v_mul_f64 v[38:39], v[32:33], v[36:37]
	v_fma_f64 v[38:39], v[30:31], v[34:35], -v[38:39]
	v_mul_f64 v[30:31], v[30:31], v[36:37]
	v_fma_f64 v[40:41], v[32:33], v[34:35], v[30:31]
	global_load_dwordx4 v[34:37], v[42:43], off offset:80
	ds_read_b128 v[30:33], v94 offset:4176
	ds_write_b128 v94, v[38:41] offset:1584
	s_waitcnt vmcnt(0) lgkmcnt(1)
	v_mul_f64 v[38:39], v[32:33], v[36:37]
	v_fma_f64 v[38:39], v[30:31], v[34:35], -v[38:39]
	v_mul_f64 v[30:31], v[30:31], v[36:37]
	v_fma_f64 v[40:41], v[32:33], v[34:35], v[30:31]
	global_load_dwordx4 v[34:37], v[42:43], off offset:2672
	ds_read_b128 v[30:33], v94 offset:6768
	v_add_co_u32_e64 v42, s[0:1], s0, v28
	v_addc_co_u32_e64 v43, s[0:1], 0, v29, s[0:1]
	ds_write_b128 v94, v[38:41] offset:4176
	s_waitcnt vmcnt(0) lgkmcnt(1)
	v_mul_f64 v[38:39], v[32:33], v[36:37]
	v_fma_f64 v[38:39], v[30:31], v[34:35], -v[38:39]
	v_mul_f64 v[30:31], v[30:31], v[36:37]
	v_fma_f64 v[40:41], v[32:33], v[34:35], v[30:31]
	global_load_dwordx4 v[34:37], v[42:43], off offset:1168
	ds_read_b128 v[30:33], v94 offset:9360
	ds_write_b128 v94, v[38:41] offset:6768
	s_waitcnt vmcnt(0) lgkmcnt(1)
	v_mul_f64 v[38:39], v[32:33], v[36:37]
	v_fma_f64 v[38:39], v[30:31], v[34:35], -v[38:39]
	v_mul_f64 v[30:31], v[30:31], v[36:37]
	v_fma_f64 v[40:41], v[32:33], v[34:35], v[30:31]
	global_load_dwordx4 v[34:37], v[42:43], off offset:3760
	ds_read_b128 v[30:33], v94 offset:11952
	ds_write_b128 v94, v[38:41] offset:9360
	s_waitcnt vmcnt(0) lgkmcnt(1)
	v_mul_f64 v[38:39], v[32:33], v[36:37]
	v_fma_f64 v[38:39], v[30:31], v[34:35], -v[38:39]
	v_mul_f64 v[30:31], v[30:31], v[36:37]
	v_fma_f64 v[40:41], v[32:33], v[34:35], v[30:31]
	v_add_co_u32_e64 v34, s[0:1], s14, v28
	v_addc_co_u32_e64 v35, s[0:1], 0, v29, s[0:1]
	global_load_dwordx4 v[34:37], v[34:35], off offset:2256
	ds_read_b128 v[30:33], v94 offset:14544
	v_add_co_u32_e64 v42, s[0:1], s12, v28
	ds_write_b128 v94, v[38:41] offset:11952
	v_addc_co_u32_e64 v43, s[0:1], 0, v29, s[0:1]
	s_waitcnt vmcnt(0) lgkmcnt(1)
	v_mul_f64 v[38:39], v[32:33], v[36:37]
	v_fma_f64 v[38:39], v[30:31], v[34:35], -v[38:39]
	v_mul_f64 v[30:31], v[30:31], v[36:37]
	v_fma_f64 v[40:41], v[32:33], v[34:35], v[30:31]
	global_load_dwordx4 v[34:37], v[42:43], off offset:752
	ds_read_b128 v[30:33], v94 offset:17136
	ds_write_b128 v94, v[38:41] offset:14544
	s_waitcnt vmcnt(0) lgkmcnt(1)
	v_mul_f64 v[38:39], v[32:33], v[36:37]
	v_fma_f64 v[38:39], v[30:31], v[34:35], -v[38:39]
	v_mul_f64 v[30:31], v[30:31], v[36:37]
	v_fma_f64 v[40:41], v[32:33], v[34:35], v[30:31]
	global_load_dwordx4 v[34:37], v[42:43], off offset:3344
	ds_read_b128 v[30:33], v94 offset:19728
	ds_write_b128 v94, v[38:41] offset:17136
	s_waitcnt vmcnt(0) lgkmcnt(1)
	v_mul_f64 v[38:39], v[32:33], v[36:37]
	v_fma_f64 v[38:39], v[30:31], v[34:35], -v[38:39]
	v_mul_f64 v[30:31], v[30:31], v[36:37]
	v_fma_f64 v[40:41], v[32:33], v[34:35], v[30:31]
	v_add_co_u32_e64 v34, s[0:1], s4, v28
	v_addc_co_u32_e64 v35, s[0:1], 0, v29, s[0:1]
	global_load_dwordx4 v[34:37], v[34:35], off offset:1840
	ds_read_b128 v[30:33], v94 offset:22320
	ds_write_b128 v94, v[38:41] offset:19728
	s_waitcnt vmcnt(0) lgkmcnt(1)
	v_mul_f64 v[38:39], v[32:33], v[36:37]
	v_fma_f64 v[38:39], v[30:31], v[34:35], -v[38:39]
	v_mul_f64 v[30:31], v[30:31], v[36:37]
	v_fma_f64 v[40:41], v[32:33], v[34:35], v[30:31]
	ds_read_b128 v[30:33], v94 offset:24912
	ds_write_b128 v94, v[38:41] offset:22320
	v_add_co_u32_e64 v38, s[0:1], s13, v28
	v_addc_co_u32_e64 v39, s[0:1], 0, v29, s[0:1]
	global_load_dwordx4 v[34:37], v[38:39], off offset:336
	s_waitcnt vmcnt(0) lgkmcnt(1)
	v_mul_f64 v[28:29], v[32:33], v[36:37]
	v_fma_f64 v[28:29], v[30:31], v[34:35], -v[28:29]
	v_mul_f64 v[30:31], v[30:31], v[36:37]
	v_fma_f64 v[30:31], v[32:33], v[34:35], v[30:31]
	global_load_dwordx4 v[32:35], v[38:39], off offset:2928
	ds_write_b128 v94, v[28:31] offset:24912
	ds_read_b128 v[28:31], v94 offset:27504
	s_waitcnt vmcnt(0) lgkmcnt(0)
	v_mul_f64 v[36:37], v[30:31], v[34:35]
	v_fma_f64 v[36:37], v[28:29], v[32:33], -v[36:37]
	v_mul_f64 v[28:29], v[28:29], v[34:35]
	v_fma_f64 v[38:39], v[30:31], v[32:33], v[28:29]
	ds_write_b128 v94, v[36:39] offset:27504
.LBB0_9:
	s_or_b64 exec, exec, s[2:3]
	s_waitcnt lgkmcnt(0)
	s_barrier
	ds_read_b128 v[64:67], v94
	ds_read_b128 v[68:71], v94 offset:2592
	ds_read_b128 v[56:59], v94 offset:5184
	;; [unrolled: 1-line block ×10, first 2 shown]
	s_and_saveexec_b64 s[0:1], vcc
	s_cbranch_execz .LBB0_11
; %bb.10:
	ds_read_b128 v[0:3], v94 offset:1584
	ds_read_b128 v[8:11], v94 offset:4176
	ds_read_b128 v[4:7], v94 offset:6768
	ds_read_b128 v[16:19], v94 offset:9360
	ds_read_b128 v[12:15], v94 offset:11952
	ds_read_b128 v[24:27], v94 offset:14544
	ds_read_b128 v[20:23], v94 offset:17136
	ds_read_b128 v[36:39], v94 offset:19728
	s_waitcnt lgkmcnt(0)
	buffer_store_dword v36, off, s[44:47], 0 offset:48 ; 4-byte Folded Spill
	s_nop 0
	buffer_store_dword v37, off, s[44:47], 0 offset:52 ; 4-byte Folded Spill
	buffer_store_dword v38, off, s[44:47], 0 offset:56 ; 4-byte Folded Spill
	buffer_store_dword v39, off, s[44:47], 0 offset:60 ; 4-byte Folded Spill
	ds_read_b128 v[36:39], v94 offset:22320
	s_waitcnt lgkmcnt(0)
	buffer_store_dword v36, off, s[44:47], 0 offset:32 ; 4-byte Folded Spill
	s_nop 0
	buffer_store_dword v37, off, s[44:47], 0 offset:36 ; 4-byte Folded Spill
	buffer_store_dword v38, off, s[44:47], 0 offset:40 ; 4-byte Folded Spill
	buffer_store_dword v39, off, s[44:47], 0 offset:44 ; 4-byte Folded Spill
	ds_read_b128 v[36:39], v94 offset:24912
	;; [unrolled: 7-line block ×3, first 2 shown]
	s_waitcnt lgkmcnt(0)
	buffer_store_dword v36, off, s[44:47], 0 ; 4-byte Folded Spill
	s_nop 0
	buffer_store_dword v37, off, s[44:47], 0 offset:4 ; 4-byte Folded Spill
	buffer_store_dword v38, off, s[44:47], 0 offset:8 ; 4-byte Folded Spill
	;; [unrolled: 1-line block ×3, first 2 shown]
.LBB0_11:
	s_or_b64 exec, exec, s[0:1]
	s_waitcnt lgkmcnt(9)
	v_add_f64 v[36:37], v[64:65], v[68:69]
	v_add_f64 v[38:39], v[66:67], v[70:71]
	s_waitcnt lgkmcnt(0)
	v_add_f64 v[79:80], v[70:71], v[74:75]
	v_add_f64 v[70:71], v[70:71], -v[74:75]
	s_mov_b32 s2, 0xf8bb580b
	s_mov_b32 s12, 0x8eee2c13
	;; [unrolled: 1-line block ×4, first 2 shown]
	v_add_f64 v[36:37], v[36:37], v[56:57]
	v_add_f64 v[38:39], v[38:39], v[58:59]
	s_mov_b32 s28, 0xfd768dbf
	s_mov_b32 s3, 0xbfe14ced
	;; [unrolled: 1-line block ×6, first 2 shown]
	v_add_f64 v[36:37], v[36:37], v[48:49]
	v_add_f64 v[38:39], v[38:39], v[50:51]
	;; [unrolled: 1-line block ×3, first 2 shown]
	v_add_f64 v[68:69], v[68:69], -v[72:73]
	v_mul_f64 v[85:86], v[70:71], s[12:13]
	v_mul_f64 v[98:99], v[70:71], s[16:17]
	;; [unrolled: 1-line block ×3, first 2 shown]
	s_mov_b32 s0, 0x8764f0ba
	v_add_f64 v[36:37], v[36:37], v[40:41]
	v_add_f64 v[38:39], v[38:39], v[42:43]
	s_mov_b32 s4, 0xd9c712b6
	s_mov_b32 s14, 0x640f44db
	;; [unrolled: 1-line block ×6, first 2 shown]
	v_add_f64 v[36:37], v[36:37], v[28:29]
	v_add_f64 v[38:39], v[38:39], v[30:31]
	s_mov_b32 s15, 0xbfc2375f
	s_mov_b32 s19, 0xbfe4f49e
	;; [unrolled: 1-line block ×3, first 2 shown]
	v_mul_f64 v[81:82], v[79:80], s[0:1]
	v_fma_f64 v[87:88], v[77:78], s[4:5], v[85:86]
	v_mul_f64 v[90:91], v[79:80], s[4:5]
	v_add_f64 v[36:37], v[36:37], v[32:33]
	v_add_f64 v[38:39], v[38:39], v[34:35]
	v_fma_f64 v[85:86], v[77:78], s[4:5], -v[85:86]
	v_fma_f64 v[100:101], v[77:78], s[14:15], v[98:99]
	v_mul_f64 v[102:103], v[79:80], s[14:15]
	v_fma_f64 v[98:99], v[77:78], s[14:15], -v[98:99]
	v_fma_f64 v[108:109], v[77:78], s[18:19], v[106:107]
	v_mul_f64 v[110:111], v[79:80], s[18:19]
	v_add_f64 v[36:37], v[36:37], v[44:45]
	v_add_f64 v[38:39], v[38:39], v[46:47]
	v_fma_f64 v[106:107], v[77:78], s[18:19], -v[106:107]
	v_mul_f64 v[79:80], v[79:80], s[24:25]
	s_mov_b32 s23, 0x3fe14ced
	s_mov_b32 s22, s2
	;; [unrolled: 1-line block ×4, first 2 shown]
	v_add_f64 v[36:37], v[36:37], v[52:53]
	v_add_f64 v[38:39], v[38:39], v[54:55]
	s_mov_b32 s27, 0x3fefac9e
	s_mov_b32 s26, s16
	;; [unrolled: 1-line block ×6, first 2 shown]
	v_add_f64 v[36:37], v[36:37], v[60:61]
	v_add_f64 v[38:39], v[38:39], v[62:63]
	v_fma_f64 v[83:84], v[68:69], s[22:23], v[81:82]
	v_fma_f64 v[81:82], v[68:69], s[2:3], v[81:82]
	v_add_f64 v[87:88], v[64:65], v[87:88]
	v_fma_f64 v[95:96], v[68:69], s[30:31], v[90:91]
	v_add_f64 v[85:86], v[64:65], v[85:86]
	;; [unrolled: 2-line block ×3, first 2 shown]
	v_mul_f64 v[72:73], v[70:71], s[2:3]
	v_mul_f64 v[70:71], v[70:71], s[28:29]
	v_add_f64 v[38:39], v[38:39], v[74:75]
	v_add_f64 v[100:101], v[64:65], v[100:101]
	v_fma_f64 v[104:105], v[68:69], s[26:27], v[102:103]
	v_add_f64 v[98:99], v[64:65], v[98:99]
	v_fma_f64 v[102:103], v[68:69], s[16:17], v[102:103]
	;; [unrolled: 2-line block ×3, first 2 shown]
	v_fma_f64 v[72:73], v[77:78], s[0:1], -v[72:73]
	v_fma_f64 v[114:115], v[77:78], s[24:25], v[70:71]
	v_fma_f64 v[70:71], v[77:78], s[24:25], -v[70:71]
	v_fma_f64 v[112:113], v[68:69], s[36:37], v[110:111]
	v_add_f64 v[106:107], v[64:65], v[106:107]
	v_fma_f64 v[110:111], v[68:69], s[20:21], v[110:111]
	v_fma_f64 v[116:117], v[68:69], s[34:35], v[79:80]
	v_add_f64 v[74:75], v[64:65], v[74:75]
	v_add_f64 v[72:73], v[64:65], v[72:73]
	;; [unrolled: 1-line block ×4, first 2 shown]
	v_fma_f64 v[68:69], v[68:69], s[28:29], v[79:80]
	v_add_f64 v[70:71], v[58:59], v[62:63]
	v_add_f64 v[58:59], v[58:59], -v[62:63]
	v_add_f64 v[83:84], v[66:67], v[83:84]
	v_add_f64 v[81:82], v[66:67], v[81:82]
	;; [unrolled: 1-line block ×11, first 2 shown]
	v_add_f64 v[56:57], v[56:57], -v[60:61]
	v_mul_f64 v[60:61], v[58:59], s[12:13]
	s_waitcnt vmcnt(0)
	s_barrier
	v_fma_f64 v[62:63], v[68:69], s[4:5], v[60:61]
	v_fma_f64 v[60:61], v[68:69], s[4:5], -v[60:61]
	v_add_f64 v[62:63], v[62:63], v[74:75]
	v_mul_f64 v[74:75], v[70:71], s[4:5]
	v_add_f64 v[60:61], v[60:61], v[72:73]
	v_fma_f64 v[77:78], v[56:57], s[30:31], v[74:75]
	v_fma_f64 v[72:73], v[56:57], s[12:13], v[74:75]
	v_mul_f64 v[74:75], v[58:59], s[20:21]
	v_add_f64 v[77:78], v[77:78], v[83:84]
	v_add_f64 v[72:73], v[72:73], v[81:82]
	v_fma_f64 v[79:80], v[68:69], s[18:19], v[74:75]
	v_mul_f64 v[81:82], v[70:71], s[18:19]
	v_fma_f64 v[74:75], v[68:69], s[18:19], -v[74:75]
	v_add_f64 v[79:80], v[79:80], v[87:88]
	v_fma_f64 v[83:84], v[56:57], s[36:37], v[81:82]
	v_add_f64 v[74:75], v[74:75], v[85:86]
	v_fma_f64 v[81:82], v[56:57], s[20:21], v[81:82]
	v_mul_f64 v[85:86], v[58:59], s[34:35]
	v_add_f64 v[83:84], v[83:84], v[95:96]
	v_add_f64 v[81:82], v[81:82], v[90:91]
	v_fma_f64 v[87:88], v[68:69], s[24:25], v[85:86]
	v_mul_f64 v[90:91], v[70:71], s[24:25]
	v_fma_f64 v[85:86], v[68:69], s[24:25], -v[85:86]
	v_add_f64 v[87:88], v[87:88], v[100:101]
	v_fma_f64 v[95:96], v[56:57], s[28:29], v[90:91]
	v_add_f64 v[85:86], v[85:86], v[98:99]
	v_fma_f64 v[90:91], v[56:57], s[34:35], v[90:91]
	v_mul_f64 v[98:99], v[58:59], s[26:27]
	v_mul_f64 v[58:59], v[58:59], s[22:23]
	v_add_f64 v[95:96], v[95:96], v[104:105]
	v_add_f64 v[90:91], v[90:91], v[102:103]
	v_fma_f64 v[100:101], v[68:69], s[14:15], v[98:99]
	v_mul_f64 v[102:103], v[70:71], s[14:15]
	v_mul_f64 v[70:71], v[70:71], s[0:1]
	v_fma_f64 v[98:99], v[68:69], s[14:15], -v[98:99]
	v_add_f64 v[100:101], v[100:101], v[108:109]
	v_fma_f64 v[104:105], v[56:57], s[16:17], v[102:103]
	v_fma_f64 v[102:103], v[56:57], s[26:27], v[102:103]
	;; [unrolled: 1-line block ×4, first 2 shown]
	v_add_f64 v[98:99], v[98:99], v[106:107]
	v_fma_f64 v[106:107], v[68:69], s[0:1], v[58:59]
	v_fma_f64 v[58:59], v[68:69], s[0:1], -v[58:59]
	v_add_f64 v[104:105], v[104:105], v[112:113]
	v_add_f64 v[102:103], v[102:103], v[110:111]
	;; [unrolled: 1-line block ×5, first 2 shown]
	v_add_f64 v[50:51], v[50:51], -v[54:55]
	v_add_f64 v[58:59], v[58:59], v[64:65]
	v_add_f64 v[64:65], v[48:49], v[52:53]
	v_add_f64 v[48:49], v[48:49], -v[52:53]
	v_add_f64 v[106:107], v[106:107], v[114:115]
	v_mul_f64 v[52:53], v[50:51], s[16:17]
	v_fma_f64 v[54:55], v[64:65], s[14:15], v[52:53]
	v_fma_f64 v[52:53], v[64:65], s[14:15], -v[52:53]
	v_add_f64 v[54:55], v[54:55], v[62:63]
	v_mul_f64 v[62:63], v[66:67], s[14:15]
	v_add_f64 v[52:53], v[52:53], v[60:61]
	v_fma_f64 v[68:69], v[48:49], s[26:27], v[62:63]
	v_fma_f64 v[60:61], v[48:49], s[16:17], v[62:63]
	v_mul_f64 v[62:63], v[50:51], s[34:35]
	v_add_f64 v[68:69], v[68:69], v[77:78]
	v_add_f64 v[60:61], v[60:61], v[72:73]
	v_fma_f64 v[70:71], v[64:65], s[24:25], v[62:63]
	v_fma_f64 v[62:63], v[64:65], s[24:25], -v[62:63]
	v_mul_f64 v[72:73], v[66:67], s[24:25]
	v_add_f64 v[70:71], v[70:71], v[79:80]
	v_add_f64 v[62:63], v[62:63], v[74:75]
	v_mul_f64 v[74:75], v[50:51], s[30:31]
	v_fma_f64 v[77:78], v[48:49], s[28:29], v[72:73]
	v_fma_f64 v[72:73], v[48:49], s[34:35], v[72:73]
	;; [unrolled: 1-line block ×3, first 2 shown]
	v_fma_f64 v[74:75], v[64:65], s[4:5], -v[74:75]
	v_add_f64 v[72:73], v[72:73], v[81:82]
	v_mul_f64 v[81:82], v[66:67], s[4:5]
	v_add_f64 v[77:78], v[77:78], v[83:84]
	v_add_f64 v[79:80], v[79:80], v[87:88]
	;; [unrolled: 1-line block ×3, first 2 shown]
	v_mul_f64 v[85:86], v[50:51], s[2:3]
	v_fma_f64 v[83:84], v[48:49], s[12:13], v[81:82]
	v_fma_f64 v[81:82], v[48:49], s[30:31], v[81:82]
	v_mul_f64 v[50:51], v[50:51], s[20:21]
	v_fma_f64 v[87:88], v[64:65], s[0:1], v[85:86]
	v_fma_f64 v[85:86], v[64:65], s[0:1], -v[85:86]
	v_add_f64 v[81:82], v[81:82], v[90:91]
	v_mul_f64 v[90:91], v[66:67], s[0:1]
	v_mul_f64 v[66:67], v[66:67], s[18:19]
	v_add_f64 v[83:84], v[83:84], v[95:96]
	v_add_f64 v[87:88], v[87:88], v[100:101]
	;; [unrolled: 1-line block ×3, first 2 shown]
	v_fma_f64 v[98:99], v[64:65], s[18:19], v[50:51]
	v_fma_f64 v[50:51], v[64:65], s[18:19], -v[50:51]
	v_fma_f64 v[95:96], v[48:49], s[22:23], v[90:91]
	v_fma_f64 v[90:91], v[48:49], s[2:3], v[90:91]
	;; [unrolled: 1-line block ×4, first 2 shown]
	v_add_f64 v[98:99], v[98:99], v[106:107]
	v_add_f64 v[50:51], v[50:51], v[58:59]
	;; [unrolled: 1-line block ×3, first 2 shown]
	v_add_f64 v[42:43], v[42:43], -v[46:47]
	v_add_f64 v[100:101], v[100:101], v[108:109]
	v_add_f64 v[48:49], v[48:49], v[56:57]
	;; [unrolled: 1-line block ×3, first 2 shown]
	v_add_f64 v[40:41], v[40:41], -v[44:45]
	v_add_f64 v[95:96], v[95:96], v[104:105]
	v_add_f64 v[104:105], v[30:31], -v[34:35]
	v_mul_f64 v[66:67], v[58:59], s[14:15]
	v_mul_f64 v[44:45], v[42:43], s[20:21]
	v_add_f64 v[90:91], v[90:91], v[102:103]
	v_add_f64 v[102:103], v[28:29], -v[32:33]
	v_fma_f64 v[46:47], v[56:57], s[18:19], v[44:45]
	v_fma_f64 v[44:45], v[56:57], s[18:19], -v[44:45]
	v_add_f64 v[46:47], v[46:47], v[54:55]
	v_mul_f64 v[54:55], v[58:59], s[18:19]
	v_add_f64 v[44:45], v[44:45], v[52:53]
	v_fma_f64 v[64:65], v[40:41], s[36:37], v[54:55]
	v_fma_f64 v[52:53], v[40:41], s[20:21], v[54:55]
	v_mul_f64 v[54:55], v[42:43], s[26:27]
	v_add_f64 v[64:65], v[64:65], v[68:69]
	v_add_f64 v[52:53], v[52:53], v[60:61]
	v_fma_f64 v[60:61], v[56:57], s[14:15], v[54:55]
	v_fma_f64 v[54:55], v[56:57], s[14:15], -v[54:55]
	v_fma_f64 v[68:69], v[40:41], s[16:17], v[66:67]
	v_add_f64 v[60:61], v[60:61], v[70:71]
	v_add_f64 v[54:55], v[54:55], v[62:63]
	v_fma_f64 v[62:63], v[40:41], s[26:27], v[66:67]
	v_mul_f64 v[66:67], v[42:43], s[2:3]
	v_add_f64 v[68:69], v[68:69], v[77:78]
	v_add_f64 v[62:63], v[62:63], v[72:73]
	v_fma_f64 v[70:71], v[56:57], s[0:1], v[66:67]
	v_mul_f64 v[72:73], v[58:59], s[0:1]
	v_fma_f64 v[66:67], v[56:57], s[0:1], -v[66:67]
	v_add_f64 v[70:71], v[70:71], v[79:80]
	v_fma_f64 v[77:78], v[40:41], s[22:23], v[72:73]
	v_add_f64 v[66:67], v[66:67], v[74:75]
	v_fma_f64 v[72:73], v[40:41], s[2:3], v[72:73]
	v_mul_f64 v[74:75], v[42:43], s[28:29]
	v_mul_f64 v[42:43], v[42:43], s[30:31]
	v_add_f64 v[77:78], v[77:78], v[83:84]
	v_add_f64 v[72:73], v[72:73], v[81:82]
	v_fma_f64 v[79:80], v[56:57], s[24:25], v[74:75]
	v_mul_f64 v[81:82], v[58:59], s[24:25]
	v_mul_f64 v[58:59], v[58:59], s[4:5]
	v_fma_f64 v[74:75], v[56:57], s[24:25], -v[74:75]
	v_add_f64 v[79:80], v[79:80], v[87:88]
	v_fma_f64 v[83:84], v[40:41], s[34:35], v[81:82]
	v_fma_f64 v[87:88], v[40:41], s[12:13], v[58:59]
	v_add_f64 v[74:75], v[74:75], v[85:86]
	v_fma_f64 v[85:86], v[56:57], s[4:5], v[42:43]
	v_fma_f64 v[81:82], v[40:41], s[28:29], v[81:82]
	;; [unrolled: 1-line block ×3, first 2 shown]
	v_fma_f64 v[42:43], v[56:57], s[4:5], -v[42:43]
	v_add_f64 v[83:84], v[83:84], v[95:96]
	v_add_f64 v[87:88], v[87:88], v[100:101]
	;; [unrolled: 1-line block ×5, first 2 shown]
	v_mul_f64 v[32:33], v[104:105], s[28:29]
	v_add_f64 v[95:96], v[40:41], v[48:49]
	v_add_f64 v[81:82], v[81:82], v[90:91]
	;; [unrolled: 1-line block ×3, first 2 shown]
	v_mul_f64 v[34:35], v[100:101], s[24:25]
	v_fma_f64 v[28:29], v[98:99], s[24:25], v[32:33]
	v_fma_f64 v[32:33], v[98:99], s[24:25], -v[32:33]
	v_fma_f64 v[30:31], v[102:103], s[34:35], v[34:35]
	v_fma_f64 v[34:35], v[102:103], s[28:29], v[34:35]
	v_add_f64 v[28:29], v[28:29], v[46:47]
	v_add_f64 v[32:33], v[32:33], v[44:45]
	v_mul_f64 v[44:45], v[104:105], s[22:23]
	v_mul_f64 v[46:47], v[100:101], s[0:1]
	v_add_f64 v[30:31], v[30:31], v[64:65]
	v_add_f64 v[34:35], v[34:35], v[52:53]
	v_mul_f64 v[52:53], v[104:105], s[20:21]
	v_fma_f64 v[40:41], v[98:99], s[0:1], v[44:45]
	v_fma_f64 v[44:45], v[98:99], s[0:1], -v[44:45]
	v_fma_f64 v[42:43], v[102:103], s[2:3], v[46:47]
	v_fma_f64 v[46:47], v[102:103], s[22:23], v[46:47]
	;; [unrolled: 1-line block ×3, first 2 shown]
	v_fma_f64 v[52:53], v[98:99], s[18:19], -v[52:53]
	v_add_f64 v[40:41], v[40:41], v[60:61]
	v_add_f64 v[44:45], v[44:45], v[54:55]
	v_mul_f64 v[54:55], v[100:101], s[18:19]
	v_add_f64 v[46:47], v[46:47], v[62:63]
	v_mul_f64 v[60:61], v[104:105], s[30:31]
	v_mul_f64 v[62:63], v[100:101], s[4:5]
	v_add_f64 v[42:43], v[42:43], v[68:69]
	v_add_f64 v[48:49], v[48:49], v[70:71]
	v_mul_f64 v[68:69], v[104:105], s[16:17]
	v_mul_f64 v[70:71], v[100:101], s[14:15]
	v_fma_f64 v[50:51], v[102:103], s[36:37], v[54:55]
	v_add_f64 v[52:53], v[52:53], v[66:67]
	v_fma_f64 v[56:57], v[98:99], s[4:5], v[60:61]
	v_fma_f64 v[58:59], v[102:103], s[12:13], v[62:63]
	v_fma_f64 v[60:61], v[98:99], s[4:5], -v[60:61]
	v_fma_f64 v[62:63], v[102:103], s[30:31], v[62:63]
	v_fma_f64 v[64:65], v[98:99], s[14:15], v[68:69]
	;; [unrolled: 1-line block ×3, first 2 shown]
	v_fma_f64 v[68:69], v[98:99], s[14:15], -v[68:69]
	v_fma_f64 v[70:71], v[102:103], s[16:17], v[70:71]
	v_fma_f64 v[54:55], v[102:103], s[20:21], v[54:55]
	v_add_f64 v[50:51], v[50:51], v[77:78]
	v_add_f64 v[56:57], v[56:57], v[79:80]
	;; [unrolled: 1-line block ×10, first 2 shown]
	ds_write_b128 v76, v[36:39]
	ds_write_b128 v76, v[28:31] offset:16
	ds_write_b128 v76, v[40:43] offset:32
	;; [unrolled: 1-line block ×10, first 2 shown]
	s_and_saveexec_b64 s[36:37], vcc
	s_cbranch_execz .LBB0_13
; %bb.12:
	buffer_store_dword v232, off, s[44:47], 0 offset:580 ; 4-byte Folded Spill
	s_nop 0
	buffer_store_dword v233, off, s[44:47], 0 offset:584 ; 4-byte Folded Spill
	buffer_store_dword v234, off, s[44:47], 0 offset:588 ; 4-byte Folded Spill
	buffer_store_dword v235, off, s[44:47], 0 offset:592 ; 4-byte Folded Spill
	buffer_store_dword v184, off, s[44:47], 0 offset:612 ; 4-byte Folded Spill
	s_nop 0
	buffer_store_dword v185, off, s[44:47], 0 offset:616 ; 4-byte Folded Spill
	buffer_store_dword v186, off, s[44:47], 0 offset:620 ; 4-byte Folded Spill
	buffer_store_dword v187, off, s[44:47], 0 offset:624 ; 4-byte Folded Spill
	;; [unrolled: 5-line block ×4, first 2 shown]
	v_mov_b32_e32 v235, v129
	buffer_store_dword v130, off, s[44:47], 0 offset:572 ; 4-byte Folded Spill
	buffer_store_dword v131, off, s[44:47], 0 offset:576 ; 4-byte Folded Spill
	v_mov_b32_e32 v234, v128
	v_mov_b32_e32 v233, v127
	;; [unrolled: 1-line block ×3, first 2 shown]
	buffer_load_dword v128, off, s[44:47], 0 ; 4-byte Folded Reload
	buffer_load_dword v129, off, s[44:47], 0 offset:4 ; 4-byte Folded Reload
	buffer_load_dword v130, off, s[44:47], 0 offset:8 ; 4-byte Folded Reload
	;; [unrolled: 1-line block ×3, first 2 shown]
	v_mov_b32_e32 v239, v167
	v_mov_b32_e32 v238, v166
	v_mov_b32_e32 v237, v165
	v_mov_b32_e32 v236, v164
	v_mov_b32_e32 v164, v244
	v_mov_b32_e32 v165, v245
	v_mov_b32_e32 v166, v246
	v_mov_b32_e32 v167, v247
	v_mov_b32_e32 v247, v223
	v_mov_b32_e32 v184, v224
	v_mov_b32_e32 v246, v222
	v_mov_b32_e32 v245, v221
	v_mov_b32_e32 v244, v220
	v_mov_b32_e32 v223, v175
	v_mov_b32_e32 v185, v225
	v_mov_b32_e32 v186, v226
	v_mov_b32_e32 v187, v227
	v_mov_b32_e32 v227, v179
	v_mov_b32_e32 v191, v155
	v_mov_b32_e32 v222, v174
	v_mov_b32_e32 v221, v173
	v_mov_b32_e32 v220, v172
	v_mov_b32_e32 v175, v140
	v_mov_b32_e32 v226, v178
	v_mov_b32_e32 v225, v177
	v_mov_b32_e32 v224, v176
	buffer_store_dword v141, off, s[44:47], 0 offset:628 ; 4-byte Folded Spill
	s_nop 0
	buffer_store_dword v142, off, s[44:47], 0 offset:632 ; 4-byte Folded Spill
	buffer_store_dword v143, off, s[44:47], 0 offset:636 ; 4-byte Folded Spill
	;; [unrolled: 1-line block ×3, first 2 shown]
	v_mov_b32_e32 v179, v136
	v_mov_b32_e32 v190, v154
	;; [unrolled: 1-line block ×7, first 2 shown]
	buffer_load_dword v140, off, s[44:47], 0 offset:48 ; 4-byte Folded Reload
	buffer_load_dword v141, off, s[44:47], 0 offset:52 ; 4-byte Folded Reload
	;; [unrolled: 1-line block ×4, first 2 shown]
	v_mov_b32_e32 v153, v132
	v_mov_b32_e32 v178, v135
	;; [unrolled: 1-line block ×4, first 2 shown]
	buffer_load_dword v132, off, s[44:47], 0 offset:16 ; 4-byte Folded Reload
	buffer_load_dword v133, off, s[44:47], 0 offset:20 ; 4-byte Folded Reload
	;; [unrolled: 1-line block ×8, first 2 shown]
	v_add_f64 v[58:59], v[24:25], -v[20:21]
	v_add_f64 v[78:79], v[26:27], -v[22:23]
	v_add_f64 v[28:29], v[26:27], v[22:23]
	v_add_f64 v[100:101], v[24:25], v[20:21]
	v_mov_b32_e32 v183, v125
	v_mov_b32_e32 v182, v124
	;; [unrolled: 1-line block ×4, first 2 shown]
	s_waitcnt vmcnt(18)
	v_add_f64 v[56:57], v[8:9], -v[128:129]
	s_waitcnt vmcnt(16)
	v_add_f64 v[64:65], v[10:11], -v[130:131]
	v_add_f64 v[66:67], v[10:11], v[130:131]
	v_add_f64 v[76:77], v[8:9], v[128:129]
	;; [unrolled: 1-line block ×4, first 2 shown]
	v_mul_f64 v[32:33], v[56:57], s[28:29]
	v_mul_f64 v[34:35], v[64:65], s[28:29]
	v_add_f64 v[8:9], v[8:9], v[4:5]
	v_fma_f64 v[38:39], v[66:67], s[24:25], v[32:33]
	v_fma_f64 v[44:45], v[76:77], s[24:25], -v[34:35]
	v_fma_f64 v[32:33], v[66:67], s[24:25], -v[32:33]
	v_fma_f64 v[34:35], v[76:77], s[24:25], v[34:35]
	v_add_f64 v[8:9], v[8:9], v[16:17]
	v_add_f64 v[38:39], v[2:3], v[38:39]
	;; [unrolled: 1-line block ×5, first 2 shown]
	s_waitcnt vmcnt(10)
	v_add_f64 v[60:61], v[12:13], -v[140:141]
	s_waitcnt vmcnt(8)
	v_add_f64 v[84:85], v[14:15], -v[142:143]
	v_add_f64 v[30:31], v[14:15], v[142:143]
	v_add_f64 v[90:91], v[12:13], v[140:141]
	v_mul_f64 v[12:13], v[64:65], s[2:3]
	s_waitcnt vmcnt(6)
	v_add_f64 v[62:63], v[4:5], -v[132:133]
	s_waitcnt vmcnt(4)
	v_add_f64 v[74:75], v[6:7], -v[134:135]
	;; [unrolled: 2-line block ×3, first 2 shown]
	v_add_f64 v[72:73], v[6:7], v[134:135]
	s_waitcnt vmcnt(0)
	v_add_f64 v[80:81], v[18:19], -v[138:139]
	v_add_f64 v[82:83], v[4:5], v[132:133]
	v_add_f64 v[70:71], v[18:19], v[138:139]
	;; [unrolled: 1-line block ×3, first 2 shown]
	v_mul_f64 v[36:37], v[62:63], s[22:23]
	v_mul_f64 v[42:43], v[74:75], s[22:23]
	;; [unrolled: 1-line block ×8, first 2 shown]
	v_fma_f64 v[46:47], v[72:73], s[0:1], v[36:37]
	v_fma_f64 v[52:53], v[82:83], s[0:1], -v[42:43]
	v_fma_f64 v[54:55], v[70:71], s[18:19], v[40:41]
	v_fma_f64 v[36:37], v[72:73], s[0:1], -v[36:37]
	v_fma_f64 v[98:99], v[86:87], s[18:19], -v[50:51]
	;; [unrolled: 1-line block ×4, first 2 shown]
	v_fma_f64 v[42:43], v[82:83], s[0:1], v[42:43]
	v_add_f64 v[38:39], v[46:47], v[38:39]
	v_add_f64 v[44:45], v[52:53], v[44:45]
	v_mul_f64 v[46:47], v[58:59], s[16:17]
	v_fma_f64 v[52:53], v[30:31], s[4:5], v[48:49]
	v_add_f64 v[32:33], v[36:37], v[32:33]
	v_fma_f64 v[48:49], v[30:31], s[4:5], -v[48:49]
	v_fma_f64 v[112:113], v[86:87], s[0:1], -v[104:105]
	v_add_f64 v[6:7], v[10:11], v[6:7]
	v_add_f64 v[38:39], v[54:55], v[38:39]
	v_mul_f64 v[54:55], v[78:79], s[16:17]
	v_add_f64 v[44:45], v[98:99], v[44:45]
	v_fma_f64 v[98:99], v[28:29], s[14:15], v[46:47]
	v_add_f64 v[40:41], v[40:41], v[32:33]
	v_add_f64 v[8:9], v[8:9], v[24:25]
	v_fma_f64 v[24:25], v[76:77], s[0:1], v[12:13]
	v_add_f64 v[6:7], v[6:7], v[18:19]
	v_add_f64 v[38:39], v[52:53], v[38:39]
	v_fma_f64 v[36:37], v[100:101], s[14:15], -v[54:55]
	v_add_f64 v[44:45], v[102:103], v[44:45]
	v_add_f64 v[52:53], v[0:1], v[34:35]
	;; [unrolled: 1-line block ×3, first 2 shown]
	v_fma_f64 v[48:49], v[100:101], s[14:15], v[54:55]
	v_fma_f64 v[54:55], v[90:91], s[4:5], v[95:96]
	v_mul_f64 v[95:96], v[74:75], s[26:27]
	v_add_f64 v[146:147], v[98:99], v[38:39]
	v_fma_f64 v[38:39], v[28:29], s[14:15], -v[46:47]
	v_add_f64 v[144:145], v[36:37], v[44:45]
	v_mul_f64 v[36:37], v[56:57], s[20:21]
	v_mul_f64 v[46:47], v[64:65], s[20:21]
	v_fma_f64 v[44:45], v[86:87], s[18:19], v[50:51]
	v_add_f64 v[42:43], v[42:43], v[52:53]
	v_mul_f64 v[50:51], v[62:63], s[26:27]
	v_fma_f64 v[106:107], v[82:83], s[14:15], -v[95:96]
	v_add_f64 v[38:39], v[38:39], v[40:41]
	v_mov_b32_e32 v32, v240
	v_fma_f64 v[52:53], v[66:67], s[18:19], v[36:37]
	v_fma_f64 v[98:99], v[76:77], s[18:19], -v[46:47]
	v_fma_f64 v[36:37], v[66:67], s[18:19], -v[36:37]
	v_add_f64 v[42:43], v[44:45], v[42:43]
	v_mul_f64 v[44:45], v[68:69], s[2:3]
	v_fma_f64 v[102:103], v[72:73], s[14:15], v[50:51]
	v_fma_f64 v[50:51], v[72:73], s[14:15], -v[50:51]
	v_fma_f64 v[46:47], v[76:77], s[18:19], v[46:47]
	v_add_f64 v[52:53], v[2:3], v[52:53]
	v_add_f64 v[98:99], v[0:1], v[98:99]
	;; [unrolled: 1-line block ×4, first 2 shown]
	v_fma_f64 v[110:111], v[70:71], s[0:1], v[44:45]
	v_fma_f64 v[44:45], v[70:71], s[0:1], -v[44:45]
	v_mov_b32_e32 v33, v241
	v_mov_b32_e32 v34, v242
	v_add_f64 v[52:53], v[102:103], v[52:53]
	v_mul_f64 v[102:103], v[84:85], s[28:29]
	v_add_f64 v[98:99], v[106:107], v[98:99]
	v_add_f64 v[36:37], v[50:51], v[36:37]
	v_mul_f64 v[50:51], v[58:59], s[30:31]
	v_fma_f64 v[106:107], v[30:31], s[24:25], v[108:109]
	v_fma_f64 v[108:109], v[30:31], s[24:25], -v[108:109]
	v_mov_b32_e32 v35, v243
	v_add_f64 v[52:53], v[110:111], v[52:53]
	v_mul_f64 v[110:111], v[78:79], s[30:31]
	v_fma_f64 v[114:115], v[90:91], s[24:25], -v[102:103]
	v_add_f64 v[98:99], v[112:113], v[98:99]
	v_add_f64 v[36:37], v[44:45], v[36:37]
	v_fma_f64 v[44:45], v[28:29], s[4:5], v[50:51]
	v_fma_f64 v[50:51], v[28:29], s[4:5], -v[50:51]
	v_mul_f64 v[112:113], v[80:81], s[30:31]
	v_add_f64 v[52:53], v[106:107], v[52:53]
	v_fma_f64 v[54:55], v[100:101], s[4:5], -v[110:111]
	v_mov_b32_e32 v243, v195
	v_add_f64 v[98:99], v[114:115], v[98:99]
	v_add_f64 v[106:107], v[108:109], v[36:37]
	;; [unrolled: 1-line block ×3, first 2 shown]
	v_fma_f64 v[48:49], v[82:83], s[14:15], v[95:96]
	v_mul_f64 v[95:96], v[56:57], s[16:17]
	v_add_f64 v[108:109], v[0:1], v[46:47]
	v_add_f64 v[42:43], v[44:45], v[52:53]
	v_mul_f64 v[44:45], v[64:65], s[16:17]
	v_add_f64 v[40:41], v[54:55], v[98:99]
	v_mul_f64 v[52:53], v[62:63], s[34:35]
	v_add_f64 v[46:47], v[50:51], v[106:107]
	v_fma_f64 v[50:51], v[86:87], s[0:1], v[104:105]
	v_fma_f64 v[54:55], v[66:67], s[14:15], v[95:96]
	v_add_f64 v[48:49], v[48:49], v[108:109]
	v_fma_f64 v[98:99], v[100:101], s[4:5], v[110:111]
	v_mul_f64 v[104:105], v[74:75], s[34:35]
	v_fma_f64 v[106:107], v[76:77], s[14:15], -v[44:45]
	v_mul_f64 v[108:109], v[68:69], s[30:31]
	v_fma_f64 v[110:111], v[72:73], s[24:25], v[52:53]
	v_mul_f64 v[114:115], v[60:61], s[2:3]
	v_add_f64 v[54:55], v[2:3], v[54:55]
	v_add_f64 v[48:49], v[50:51], v[48:49]
	v_fma_f64 v[50:51], v[66:67], s[14:15], -v[95:96]
	v_fma_f64 v[95:96], v[82:83], s[24:25], -v[104:105]
	v_add_f64 v[106:107], v[0:1], v[106:107]
	v_fma_f64 v[116:117], v[70:71], s[4:5], v[108:109]
	v_mov_b32_e32 v242, v194
	v_mov_b32_e32 v241, v193
	v_add_f64 v[54:55], v[110:111], v[54:55]
	v_mov_b32_e32 v240, v192
	v_mov_b32_e32 v195, v171
	v_mov_b32_e32 v194, v170
	v_mov_b32_e32 v193, v169
	v_mov_b32_e32 v192, v168
	v_mov_b32_e32 v171, v151
	v_mov_b32_e32 v170, v150
	v_mov_b32_e32 v169, v149
	v_mov_b32_e32 v168, v148
	v_mov_b32_e32 v152, v121
	v_fma_f64 v[102:103], v[90:91], s[24:25], v[102:103]
	v_mul_f64 v[110:111], v[84:85], s[2:3]
	v_fma_f64 v[52:53], v[72:73], s[24:25], -v[52:53]
	v_add_f64 v[50:51], v[2:3], v[50:51]
	v_mov_b32_e32 v151, v120
	v_mov_b32_e32 v150, v119
	;; [unrolled: 1-line block ×3, first 2 shown]
	v_fma_f64 v[118:119], v[86:87], s[4:5], -v[112:113]
	v_add_f64 v[95:96], v[95:96], v[106:107]
	v_mov_b32_e32 v148, v97
	v_mov_b32_e32 v97, v89
	v_fma_f64 v[88:89], v[30:31], s[0:1], v[114:115]
	v_add_f64 v[54:55], v[116:117], v[54:55]
	v_mul_f64 v[106:107], v[58:59], s[20:21]
	v_mul_f64 v[116:117], v[78:79], s[20:21]
	v_fma_f64 v[108:109], v[70:71], s[4:5], -v[108:109]
	v_add_f64 v[50:51], v[52:53], v[50:51]
	v_fma_f64 v[52:53], v[90:91], s[0:1], -v[110:111]
	v_add_f64 v[95:96], v[118:119], v[95:96]
	v_add_f64 v[48:49], v[102:103], v[48:49]
	;; [unrolled: 1-line block ×3, first 2 shown]
	v_fma_f64 v[88:89], v[30:31], s[0:1], -v[114:115]
	v_fma_f64 v[114:115], v[76:77], s[14:15], v[44:45]
	v_fma_f64 v[102:103], v[28:29], s[18:19], v[106:107]
	v_add_f64 v[50:51], v[108:109], v[50:51]
	v_fma_f64 v[108:109], v[100:101], s[18:19], -v[116:117]
	v_add_f64 v[52:53], v[52:53], v[95:96]
	v_add_f64 v[44:45], v[98:99], v[48:49]
	v_fma_f64 v[95:96], v[28:29], s[18:19], -v[106:107]
	v_fma_f64 v[98:99], v[82:83], s[24:25], v[104:105]
	v_add_f64 v[106:107], v[0:1], v[114:115]
	v_mul_f64 v[104:105], v[56:57], s[12:13]
	v_add_f64 v[88:89], v[88:89], v[50:51]
	v_add_f64 v[50:51], v[102:103], v[54:55]
	;; [unrolled: 1-line block ×3, first 2 shown]
	v_fma_f64 v[52:53], v[86:87], s[4:5], v[112:113]
	v_mul_f64 v[102:103], v[64:65], s[12:13]
	v_mul_f64 v[108:109], v[62:63], s[20:21]
	v_add_f64 v[98:99], v[98:99], v[106:107]
	v_mul_f64 v[56:57], v[56:57], s[2:3]
	v_add_f64 v[54:55], v[95:96], v[88:89]
	v_fma_f64 v[88:89], v[90:91], s[0:1], v[110:111]
	v_mul_f64 v[95:96], v[74:75], s[20:21]
	v_mul_f64 v[110:111], v[68:69], s[34:35]
	v_fma_f64 v[106:107], v[76:77], s[4:5], -v[102:103]
	v_fma_f64 v[114:115], v[72:73], s[18:19], v[108:109]
	v_add_f64 v[52:53], v[52:53], v[98:99]
	v_fma_f64 v[108:109], v[72:73], s[18:19], -v[108:109]
	v_fma_f64 v[98:99], v[100:101], s[18:19], v[116:117]
	v_fma_f64 v[102:103], v[76:77], s[4:5], v[102:103]
	v_fma_f64 v[118:119], v[82:83], s[18:19], -v[95:96]
	v_fma_f64 v[122:123], v[70:71], s[24:25], v[110:111]
	v_add_f64 v[106:107], v[0:1], v[106:107]
	v_fma_f64 v[110:111], v[70:71], s[24:25], -v[110:111]
	v_add_f64 v[52:53], v[88:89], v[52:53]
	v_fma_f64 v[88:89], v[66:67], s[4:5], -v[104:105]
	v_fma_f64 v[112:113], v[66:67], s[4:5], v[104:105]
	v_fma_f64 v[95:96], v[82:83], s[18:19], v[95:96]
	v_add_f64 v[102:103], v[0:1], v[102:103]
	v_mul_f64 v[62:63], v[62:63], s[12:13]
	v_add_f64 v[106:107], v[118:119], v[106:107]
	v_mul_f64 v[118:119], v[58:59], s[22:23]
	v_add_f64 v[52:53], v[98:99], v[52:53]
	v_add_f64 v[88:89], v[2:3], v[88:89]
	;; [unrolled: 1-line block ×4, first 2 shown]
	v_mul_f64 v[116:117], v[80:81], s[34:35]
	v_add_f64 v[95:96], v[95:96], v[102:103]
	v_mul_f64 v[68:69], v[68:69], s[16:17]
	v_fma_f64 v[98:99], v[28:29], s[0:1], v[118:119]
	v_fma_f64 v[10:11], v[72:73], s[4:5], v[62:63]
	v_add_f64 v[88:89], v[108:109], v[88:89]
	v_mul_f64 v[64:65], v[74:75], s[12:13]
	v_add_f64 v[6:7], v[6:7], v[26:27]
	v_fma_f64 v[12:13], v[76:77], s[0:1], -v[12:13]
	v_mul_f64 v[120:121], v[60:61], s[26:27]
	v_add_f64 v[112:113], v[114:115], v[112:113]
	v_fma_f64 v[114:115], v[86:87], s[24:25], -v[116:117]
	v_add_f64 v[8:9], v[8:9], v[20:21]
	v_add_f64 v[88:89], v[110:111], v[88:89]
	v_fma_f64 v[110:111], v[28:29], s[0:1], -v[118:119]
	v_fma_f64 v[118:119], v[66:67], s[0:1], v[56:57]
	v_fma_f64 v[56:57], v[66:67], s[0:1], -v[56:57]
	v_fma_f64 v[16:17], v[70:71], s[14:15], v[68:69]
	v_mul_f64 v[26:27], v[80:81], s[16:17]
	v_fma_f64 v[62:63], v[72:73], s[4:5], -v[62:63]
	v_add_f64 v[6:7], v[6:7], v[22:23]
	v_add_f64 v[20:21], v[0:1], v[24:25]
	v_fma_f64 v[22:23], v[82:83], s[4:5], -v[64:65]
	v_add_f64 v[102:103], v[2:3], v[118:119]
	v_add_f64 v[2:3], v[2:3], v[56:57]
	;; [unrolled: 1-line block ×3, first 2 shown]
	v_mul_f64 v[104:105], v[84:85], s[26:27]
	v_add_f64 v[106:107], v[114:115], v[106:107]
	v_fma_f64 v[114:115], v[30:31], s[14:15], -v[120:121]
	v_fma_f64 v[116:117], v[86:87], s[24:25], v[116:117]
	v_add_f64 v[8:9], v[8:9], v[140:141]
	v_add_f64 v[10:11], v[10:11], v[102:103]
	v_mul_f64 v[60:61], v[60:61], s[20:21]
	v_fma_f64 v[56:57], v[82:83], s[4:5], v[64:65]
	v_fma_f64 v[12:13], v[70:71], s[14:15], -v[68:69]
	v_add_f64 v[2:3], v[62:63], v[2:3]
	v_fma_f64 v[24:25], v[86:87], s[14:15], v[26:27]
	v_add_f64 v[6:7], v[6:7], v[142:143]
	v_fma_f64 v[26:27], v[86:87], s[14:15], -v[26:27]
	v_add_f64 v[10:11], v[16:17], v[10:11]
	v_mul_f64 v[16:17], v[84:85], s[20:21]
	v_add_f64 v[0:1], v[22:23], v[0:1]
	v_fma_f64 v[126:127], v[90:91], s[14:15], -v[104:105]
	v_add_f64 v[88:89], v[114:115], v[88:89]
	v_fma_f64 v[104:105], v[90:91], s[14:15], v[104:105]
	v_add_f64 v[95:96], v[116:117], v[95:96]
	v_add_f64 v[8:9], v[8:9], v[136:137]
	v_add_f64 v[112:113], v[122:123], v[112:113]
	v_mul_f64 v[122:123], v[78:79], s[22:23]
	v_mul_f64 v[58:59], v[58:59], s[28:29]
	;; [unrolled: 1-line block ×3, first 2 shown]
	v_add_f64 v[20:21], v[56:57], v[20:21]
	v_fma_f64 v[22:23], v[30:31], s[18:19], -v[60:61]
	v_add_f64 v[2:3], v[12:13], v[2:3]
	v_fma_f64 v[12:13], v[90:91], s[18:19], v[16:17]
	v_add_f64 v[6:7], v[6:7], v[138:139]
	v_fma_f64 v[16:17], v[90:91], s[18:19], -v[16:17]
	v_add_f64 v[0:1], v[26:27], v[0:1]
	v_add_f64 v[4:5], v[110:111], v[88:89]
	;; [unrolled: 1-line block ×3, first 2 shown]
	v_fma_f64 v[95:96], v[30:31], s[18:19], v[60:61]
	v_add_f64 v[26:27], v[8:9], v[132:133]
	v_fma_f64 v[18:19], v[100:101], s[0:1], v[122:123]
	v_add_f64 v[20:21], v[24:25], v[20:21]
	v_fma_f64 v[24:25], v[28:29], s[24:25], -v[58:59]
	v_add_f64 v[2:3], v[22:23], v[2:3]
	v_add_f64 v[6:7], v[6:7], v[134:135]
	v_fma_f64 v[56:57], v[100:101], s[24:25], -v[14:15]
	v_add_f64 v[0:1], v[16:17], v[0:1]
	v_mov_b32_e32 v137, v172
	v_mov_b32_e32 v138, v173
	;; [unrolled: 1-line block ×10, first 2 shown]
	v_fma_f64 v[124:125], v[30:31], s[14:15], v[120:121]
	v_mov_b32_e32 v118, v149
	v_mov_b32_e32 v221, v245
	;; [unrolled: 1-line block ×9, first 2 shown]
	v_add_f64 v[106:107], v[126:127], v[106:107]
	v_mov_b32_e32 v119, v150
	v_mov_b32_e32 v120, v151
	v_mov_b32_e32 v121, v152
	v_mov_b32_e32 v246, v166
	v_mov_b32_e32 v245, v165
	v_mov_b32_e32 v244, v164
	v_mov_b32_e32 v132, v153
	v_mov_b32_e32 v177, v225
	v_mov_b32_e32 v178, v226
	v_mov_b32_e32 v179, v227
	v_mov_b32_e32 v227, v187
	v_add_f64 v[30:31], v[95:96], v[10:11]
	v_mov_b32_e32 v152, v188
	v_add_f64 v[10:11], v[26:27], v[128:129]
	v_mov_b32_e32 v126, v232
	v_mov_b32_e32 v164, v236
	;; [unrolled: 1-line block ×5, first 2 shown]
	v_add_f64 v[20:21], v[12:13], v[20:21]
	v_add_f64 v[8:9], v[24:25], v[2:3]
	;; [unrolled: 1-line block ×3, first 2 shown]
	buffer_load_dword v131, off, s[44:47], 0 offset:576 ; 4-byte Folded Reload
	buffer_load_dword v130, off, s[44:47], 0 offset:572 ; 4-byte Folded Reload
	v_mov_b32_e32 v153, v189
	v_mov_b32_e32 v154, v190
	;; [unrolled: 1-line block ×9, first 2 shown]
	buffer_load_dword v236, off, s[44:47], 0 offset:596 ; 4-byte Folded Reload
	buffer_load_dword v237, off, s[44:47], 0 offset:600 ; 4-byte Folded Reload
	;; [unrolled: 1-line block ×16, first 2 shown]
	v_add_f64 v[2:3], v[18:19], v[88:89]
	v_add_f64 v[18:19], v[56:57], v[0:1]
	buffer_load_dword v0, off, s[44:47], 0 offset:568 ; 4-byte Folded Reload
	v_fma_f64 v[22:23], v[100:101], s[24:25], v[14:15]
	v_add_f64 v[108:109], v[124:125], v[112:113]
	v_fma_f64 v[112:113], v[100:101], s[0:1], -v[122:123]
	v_fma_f64 v[28:29], v[28:29], s[24:25], v[58:59]
	v_mov_b32_e32 v89, v97
	v_mov_b32_e32 v97, v148
	;; [unrolled: 1-line block ×4, first 2 shown]
	v_add_f64 v[6:7], v[22:23], v[20:21]
	v_add_f64 v[16:17], v[98:99], v[108:109]
	v_add_f64 v[14:15], v[112:113], v[106:107]
	v_add_f64 v[20:21], v[28:29], v[30:31]
	v_mov_b32_e32 v150, v170
	v_mov_b32_e32 v151, v171
	;; [unrolled: 1-line block ×18, first 2 shown]
	s_waitcnt vmcnt(0)
	v_lshlrev_b32_e32 v0, 4, v0
	ds_write_b128 v0, v[10:13]
	ds_write_b128 v0, v[6:9] offset:16
	ds_write_b128 v0, v[2:5] offset:32
	ds_write_b128 v0, v[52:55] offset:48
	ds_write_b128 v0, v[44:47] offset:64
	ds_write_b128 v0, v[36:39] offset:80
	ds_write_b128 v0, v[144:147] offset:96
	buffer_load_dword v141, off, s[44:47], 0 offset:628 ; 4-byte Folded Reload
	buffer_load_dword v142, off, s[44:47], 0 offset:632 ; 4-byte Folded Reload
	;; [unrolled: 1-line block ×4, first 2 shown]
	ds_write_b128 v0, v[40:43] offset:112
	ds_write_b128 v0, v[48:51] offset:128
	;; [unrolled: 1-line block ×4, first 2 shown]
.LBB0_13:
	s_or_b64 exec, exec, s[36:37]
	s_waitcnt vmcnt(0) lgkmcnt(0)
	s_barrier
	ds_read_b128 v[0:3], v94 offset:9504
	ds_read_b128 v[4:7], v94 offset:11088
	buffer_load_dword v14, off, s[44:47], 0 offset:252 ; 4-byte Folded Reload
	buffer_load_dword v15, off, s[44:47], 0 offset:256 ; 4-byte Folded Reload
	;; [unrolled: 1-line block ×4, first 2 shown]
	s_mov_b32 s0, 0xe8584caa
	s_mov_b32 s1, 0xbfebb67a
	;; [unrolled: 1-line block ×4, first 2 shown]
	s_waitcnt vmcnt(0) lgkmcnt(1)
	v_mul_f64 v[8:9], v[16:17], v[2:3]
	v_fma_f64 v[12:13], v[14:15], v[0:1], v[8:9]
	v_mul_f64 v[0:1], v[16:17], v[0:1]
	v_fma_f64 v[14:15], v[14:15], v[2:3], -v[0:1]
	ds_read_b128 v[0:3], v94 offset:19008
	ds_read_b128 v[8:11], v94 offset:20592
	buffer_load_dword v20, off, s[44:47], 0 offset:284 ; 4-byte Folded Reload
	buffer_load_dword v21, off, s[44:47], 0 offset:288 ; 4-byte Folded Reload
	;; [unrolled: 1-line block ×4, first 2 shown]
	s_waitcnt lgkmcnt(1)
	v_mul_f64 v[16:17], v[135:136], v[2:3]
	v_fma_f64 v[16:17], v[133:134], v[0:1], v[16:17]
	v_mul_f64 v[0:1], v[135:136], v[0:1]
	v_fma_f64 v[18:19], v[133:134], v[2:3], -v[0:1]
	s_waitcnt vmcnt(0)
	v_mul_f64 v[0:1], v[22:23], v[6:7]
	v_fma_f64 v[32:33], v[20:21], v[4:5], v[0:1]
	v_mul_f64 v[0:1], v[22:23], v[4:5]
	buffer_load_dword v2, off, s[44:47], 0 offset:268 ; 4-byte Folded Reload
	buffer_load_dword v3, off, s[44:47], 0 offset:272 ; 4-byte Folded Reload
	;; [unrolled: 1-line block ×4, first 2 shown]
	v_fma_f64 v[34:35], v[20:21], v[6:7], -v[0:1]
	s_waitcnt vmcnt(0) lgkmcnt(0)
	v_mul_f64 v[0:1], v[4:5], v[10:11]
	v_fma_f64 v[36:37], v[2:3], v[8:9], v[0:1]
	v_mul_f64 v[0:1], v[4:5], v[8:9]
	v_fma_f64 v[38:39], v[2:3], v[10:11], -v[0:1]
	ds_read_b128 v[0:3], v94 offset:12672
	ds_read_b128 v[4:7], v94 offset:14256
	buffer_load_dword v20, off, s[44:47], 0 offset:316 ; 4-byte Folded Reload
	buffer_load_dword v21, off, s[44:47], 0 offset:320 ; 4-byte Folded Reload
	;; [unrolled: 1-line block ×4, first 2 shown]
	s_waitcnt vmcnt(0) lgkmcnt(1)
	v_mul_f64 v[8:9], v[22:23], v[2:3]
	v_fma_f64 v[40:41], v[20:21], v[0:1], v[8:9]
	v_mul_f64 v[0:1], v[22:23], v[0:1]
	v_fma_f64 v[42:43], v[20:21], v[2:3], -v[0:1]
	ds_read_b128 v[0:3], v94 offset:22176
	ds_read_b128 v[8:11], v94 offset:23760
	buffer_load_dword v22, off, s[44:47], 0 offset:300 ; 4-byte Folded Reload
	buffer_load_dword v23, off, s[44:47], 0 offset:304 ; 4-byte Folded Reload
	;; [unrolled: 1-line block ×4, first 2 shown]
	s_waitcnt vmcnt(0) lgkmcnt(1)
	v_mul_f64 v[20:21], v[24:25], v[2:3]
	v_fma_f64 v[44:45], v[22:23], v[0:1], v[20:21]
	v_mul_f64 v[0:1], v[24:25], v[0:1]
	v_fma_f64 v[46:47], v[22:23], v[2:3], -v[0:1]
	buffer_load_dword v20, off, s[44:47], 0 offset:348 ; 4-byte Folded Reload
	buffer_load_dword v21, off, s[44:47], 0 offset:352 ; 4-byte Folded Reload
	;; [unrolled: 1-line block ×4, first 2 shown]
	s_waitcnt vmcnt(0)
	v_mul_f64 v[0:1], v[22:23], v[6:7]
	v_fma_f64 v[48:49], v[20:21], v[4:5], v[0:1]
	v_mul_f64 v[0:1], v[22:23], v[4:5]
	buffer_load_dword v2, off, s[44:47], 0 offset:332 ; 4-byte Folded Reload
	buffer_load_dword v3, off, s[44:47], 0 offset:336 ; 4-byte Folded Reload
	;; [unrolled: 1-line block ×4, first 2 shown]
	v_fma_f64 v[50:51], v[20:21], v[6:7], -v[0:1]
	s_waitcnt vmcnt(0) lgkmcnt(0)
	v_mul_f64 v[0:1], v[4:5], v[10:11]
	v_fma_f64 v[52:53], v[2:3], v[8:9], v[0:1]
	v_mul_f64 v[0:1], v[4:5], v[8:9]
	v_fma_f64 v[54:55], v[2:3], v[10:11], -v[0:1]
	ds_read_b128 v[0:3], v94 offset:15840
	ds_read_b128 v[4:7], v94 offset:17424
	buffer_load_dword v20, off, s[44:47], 0 offset:380 ; 4-byte Folded Reload
	buffer_load_dword v21, off, s[44:47], 0 offset:384 ; 4-byte Folded Reload
	;; [unrolled: 1-line block ×4, first 2 shown]
	s_waitcnt vmcnt(0) lgkmcnt(1)
	v_mul_f64 v[8:9], v[22:23], v[2:3]
	v_fma_f64 v[56:57], v[20:21], v[0:1], v[8:9]
	v_mul_f64 v[0:1], v[22:23], v[0:1]
	v_fma_f64 v[58:59], v[20:21], v[2:3], -v[0:1]
	ds_read_b128 v[0:3], v94 offset:25344
	ds_read_b128 v[8:11], v94 offset:26928
	buffer_load_dword v22, off, s[44:47], 0 offset:364 ; 4-byte Folded Reload
	buffer_load_dword v23, off, s[44:47], 0 offset:368 ; 4-byte Folded Reload
	;; [unrolled: 1-line block ×4, first 2 shown]
	s_waitcnt vmcnt(0) lgkmcnt(1)
	v_mul_f64 v[20:21], v[24:25], v[2:3]
	v_fma_f64 v[60:61], v[22:23], v[0:1], v[20:21]
	v_mul_f64 v[0:1], v[24:25], v[0:1]
	v_fma_f64 v[62:63], v[22:23], v[2:3], -v[0:1]
	buffer_load_dword v20, off, s[44:47], 0 offset:412 ; 4-byte Folded Reload
	buffer_load_dword v21, off, s[44:47], 0 offset:416 ; 4-byte Folded Reload
	;; [unrolled: 1-line block ×4, first 2 shown]
	s_waitcnt vmcnt(0)
	v_mul_f64 v[0:1], v[22:23], v[6:7]
	v_fma_f64 v[64:65], v[20:21], v[4:5], v[0:1]
	v_mul_f64 v[0:1], v[22:23], v[4:5]
	buffer_load_dword v2, off, s[44:47], 0 offset:396 ; 4-byte Folded Reload
	buffer_load_dword v3, off, s[44:47], 0 offset:400 ; 4-byte Folded Reload
	;; [unrolled: 1-line block ×4, first 2 shown]
	v_fma_f64 v[66:67], v[20:21], v[6:7], -v[0:1]
	s_waitcnt vmcnt(0) lgkmcnt(0)
	v_mul_f64 v[0:1], v[4:5], v[10:11]
	v_fma_f64 v[68:69], v[2:3], v[8:9], v[0:1]
	v_mul_f64 v[0:1], v[4:5], v[8:9]
	v_add_f64 v[8:9], v[12:13], v[16:17]
	v_fma_f64 v[70:71], v[2:3], v[10:11], -v[0:1]
	ds_read_b128 v[0:3], v94
	ds_read_b128 v[4:7], v94 offset:1584
	s_waitcnt lgkmcnt(1)
	v_fma_f64 v[10:11], v[8:9], -0.5, v[0:1]
	v_add_f64 v[8:9], v[14:15], v[18:19]
	v_add_f64 v[0:1], v[0:1], v[12:13]
	v_fma_f64 v[20:21], v[8:9], -0.5, v[2:3]
	v_add_f64 v[2:3], v[2:3], v[14:15]
	v_add_f64 v[14:15], v[14:15], -v[18:19]
	v_add_f64 v[0:1], v[0:1], v[16:17]
	v_add_f64 v[16:17], v[12:13], -v[16:17]
	v_add_f64 v[2:3], v[2:3], v[18:19]
	v_fma_f64 v[8:9], v[14:15], s[0:1], v[10:11]
	v_fma_f64 v[12:13], v[14:15], s[2:3], v[10:11]
	;; [unrolled: 1-line block ×4, first 2 shown]
	ds_read_b128 v[16:19], v94 offset:3168
	ds_read_b128 v[20:23], v94 offset:4752
	;; [unrolled: 1-line block ×4, first 2 shown]
	s_waitcnt lgkmcnt(0)
	s_barrier
	ds_write_b128 v131, v[0:3]
	ds_write_b128 v131, v[8:11] offset:176
	ds_write_b128 v131, v[12:15] offset:352
	v_add_f64 v[0:1], v[32:33], v[36:37]
	v_add_f64 v[12:13], v[32:33], -v[36:37]
	v_fma_f64 v[8:9], v[0:1], -0.5, v[4:5]
	v_add_f64 v[0:1], v[34:35], v[38:39]
	v_add_f64 v[4:5], v[4:5], v[32:33]
	v_fma_f64 v[10:11], v[0:1], -0.5, v[6:7]
	v_add_f64 v[0:1], v[6:7], v[34:35]
	v_add_f64 v[6:7], v[34:35], -v[38:39]
	v_add_f64 v[2:3], v[0:1], v[38:39]
	v_add_f64 v[0:1], v[4:5], v[36:37]
	v_fma_f64 v[4:5], v[6:7], s[0:1], v[8:9]
	v_fma_f64 v[8:9], v[6:7], s[2:3], v[8:9]
	;; [unrolled: 1-line block ×4, first 2 shown]
	ds_write_b128 v130, v[0:3]
	ds_write_b128 v130, v[4:7] offset:176
	ds_write_b128 v130, v[8:11] offset:352
	v_add_f64 v[0:1], v[40:41], v[44:45]
	v_add_f64 v[4:5], v[16:17], v[40:41]
	v_add_f64 v[8:9], v[42:43], -v[46:47]
	v_add_f64 v[12:13], v[40:41], -v[44:45]
	;; [unrolled: 1-line block ×4, first 2 shown]
	v_fma_f64 v[6:7], v[0:1], -0.5, v[16:17]
	v_add_f64 v[0:1], v[42:43], v[46:47]
	v_add_f64 v[16:17], v[20:21], v[48:49]
	v_fma_f64 v[10:11], v[0:1], -0.5, v[18:19]
	v_add_f64 v[0:1], v[18:19], v[42:43]
	v_add_f64 v[2:3], v[0:1], v[46:47]
	;; [unrolled: 1-line block ×3, first 2 shown]
	v_fma_f64 v[4:5], v[8:9], s[0:1], v[6:7]
	v_fma_f64 v[8:9], v[8:9], s[2:3], v[6:7]
	;; [unrolled: 1-line block ×4, first 2 shown]
	v_add_f64 v[12:13], v[48:49], v[52:53]
	v_add_f64 v[44:45], v[66:67], -v[70:71]
	v_fma_f64 v[18:19], v[12:13], -0.5, v[20:21]
	v_add_f64 v[12:13], v[50:51], v[54:55]
	v_add_f64 v[20:21], v[50:51], -v[54:55]
	v_fma_f64 v[32:33], v[12:13], -0.5, v[22:23]
	v_add_f64 v[12:13], v[22:23], v[50:51]
	v_add_f64 v[22:23], v[48:49], -v[52:53]
	v_add_f64 v[48:49], v[64:65], -v[68:69]
	v_add_f64 v[14:15], v[12:13], v[54:55]
	v_add_f64 v[12:13], v[16:17], v[52:53]
	v_fma_f64 v[16:17], v[20:21], s[0:1], v[18:19]
	v_fma_f64 v[20:21], v[20:21], s[2:3], v[18:19]
	;; [unrolled: 1-line block ×4, first 2 shown]
	v_add_f64 v[32:33], v[56:57], v[60:61]
	v_fma_f64 v[34:35], v[32:33], -0.5, v[24:25]
	v_add_f64 v[32:33], v[58:59], v[62:63]
	v_add_f64 v[24:25], v[24:25], v[56:57]
	v_fma_f64 v[38:39], v[32:33], -0.5, v[26:27]
	v_fma_f64 v[32:33], v[36:37], s[0:1], v[34:35]
	v_fma_f64 v[36:37], v[36:37], s[2:3], v[34:35]
	v_add_f64 v[26:27], v[26:27], v[58:59]
	v_add_f64 v[24:25], v[24:25], v[60:61]
	v_fma_f64 v[34:35], v[40:41], s[2:3], v[38:39]
	v_fma_f64 v[38:39], v[40:41], s[0:1], v[38:39]
	v_add_f64 v[40:41], v[64:65], v[68:69]
	v_add_f64 v[26:27], v[26:27], v[62:63]
	v_fma_f64 v[42:43], v[40:41], -0.5, v[28:29]
	v_add_f64 v[40:41], v[66:67], v[70:71]
	v_add_f64 v[28:29], v[28:29], v[64:65]
	v_fma_f64 v[46:47], v[40:41], -0.5, v[30:31]
	v_fma_f64 v[40:41], v[44:45], s[0:1], v[42:43]
	v_fma_f64 v[44:45], v[44:45], s[2:3], v[42:43]
	v_add_f64 v[30:31], v[30:31], v[66:67]
	v_add_f64 v[28:29], v[28:29], v[68:69]
	v_fma_f64 v[42:43], v[48:49], s[2:3], v[46:47]
	v_fma_f64 v[46:47], v[48:49], s[0:1], v[46:47]
	buffer_load_dword v48, off, s[44:47], 0 offset:544 ; 4-byte Folded Reload
	v_add_f64 v[30:31], v[30:31], v[70:71]
	s_waitcnt vmcnt(0)
	ds_write_b128 v48, v[0:3]
	ds_write_b128 v48, v[4:7] offset:176
	ds_write_b128 v48, v[8:11] offset:352
	ds_write_b128 v89, v[12:15]
	ds_write_b128 v89, v[16:19] offset:176
	ds_write_b128 v89, v[20:23] offset:352
	;; [unrolled: 3-line block ×3, first 2 shown]
	buffer_load_dword v0, off, s[44:47], 0 offset:548 ; 4-byte Folded Reload
	s_waitcnt vmcnt(0)
	ds_write_b128 v0, v[28:31]
	ds_write_b128 v0, v[40:43] offset:176
	ds_write_b128 v0, v[44:47] offset:352
	s_waitcnt lgkmcnt(0)
	s_barrier
	ds_read_b128 v[0:3], v94 offset:9504
	ds_read_b128 v[4:7], v94 offset:19008
	;; [unrolled: 1-line block ×3, first 2 shown]
	ds_read_b128 v[12:15], v94
	ds_read_b128 v[16:19], v94 offset:1584
	ds_read_b128 v[20:23], v94 offset:20592
	ds_read_b128 v[24:27], v94 offset:12672
	ds_read_b128 v[28:31], v94 offset:14256
	s_waitcnt lgkmcnt(7)
	v_mul_f64 v[32:33], v[128:129], v[2:3]
	v_mul_f64 v[34:35], v[128:129], v[0:1]
	s_waitcnt lgkmcnt(6)
	v_mul_f64 v[36:37], v[120:121], v[6:7]
	v_mul_f64 v[38:39], v[120:121], v[4:5]
	buffer_load_dword v50, off, s[44:47], 0 offset:428 ; 4-byte Folded Reload
	buffer_load_dword v51, off, s[44:47], 0 offset:432 ; 4-byte Folded Reload
	;; [unrolled: 1-line block ×4, first 2 shown]
	s_waitcnt lgkmcnt(2)
	v_mul_f64 v[44:45], v[150:151], v[22:23]
	v_mul_f64 v[46:47], v[150:151], v[20:21]
	v_fma_f64 v[40:41], v[126:127], v[0:1], v[32:33]
	v_fma_f64 v[42:43], v[126:127], v[2:3], -v[34:35]
	v_fma_f64 v[36:37], v[118:119], v[4:5], v[36:37]
	v_fma_f64 v[38:39], v[118:119], v[6:7], -v[38:39]
	ds_read_b128 v[0:3], v94 offset:22176
	ds_read_b128 v[4:7], v94 offset:23760
	buffer_load_dword v60, off, s[44:47], 0 offset:460 ; 4-byte Folded Reload
	buffer_load_dword v61, off, s[44:47], 0 offset:464 ; 4-byte Folded Reload
	;; [unrolled: 1-line block ×4, first 2 shown]
	v_fma_f64 v[44:45], v[148:149], v[20:21], v[44:45]
	v_fma_f64 v[46:47], v[148:149], v[22:23], -v[46:47]
	v_add_f64 v[84:85], v[42:43], -v[38:39]
	s_waitcnt vmcnt(4)
	v_mul_f64 v[32:33], v[52:53], v[10:11]
	v_mul_f64 v[34:35], v[52:53], v[8:9]
	v_fma_f64 v[48:49], v[50:51], v[8:9], v[32:33]
	v_fma_f64 v[50:51], v[50:51], v[10:11], -v[34:35]
	s_waitcnt vmcnt(0) lgkmcnt(3)
	v_mul_f64 v[32:33], v[62:63], v[26:27]
	v_mul_f64 v[34:35], v[62:63], v[24:25]
	ds_read_b128 v[8:11], v94 offset:25344
	buffer_load_dword v62, off, s[44:47], 0 offset:444 ; 4-byte Folded Reload
	buffer_load_dword v63, off, s[44:47], 0 offset:448 ; 4-byte Folded Reload
	;; [unrolled: 1-line block ×8, first 2 shown]
	v_fma_f64 v[58:59], v[60:61], v[24:25], v[32:33]
	v_fma_f64 v[60:61], v[60:61], v[26:27], -v[34:35]
	ds_read_b128 v[20:23], v94 offset:15840
	ds_read_b128 v[24:27], v94 offset:17424
	buffer_load_dword v72, off, s[44:47], 0 offset:476 ; 4-byte Folded Reload
	buffer_load_dword v73, off, s[44:47], 0 offset:480 ; 4-byte Folded Reload
	;; [unrolled: 1-line block ×8, first 2 shown]
	s_waitcnt vmcnt(12) lgkmcnt(4)
	v_mul_f64 v[52:53], v[64:65], v[2:3]
	v_mul_f64 v[54:55], v[64:65], v[0:1]
	s_waitcnt vmcnt(8)
	v_mul_f64 v[56:57], v[68:69], v[30:31]
	v_mul_f64 v[32:33], v[68:69], v[28:29]
	v_fma_f64 v[52:53], v[62:63], v[0:1], v[52:53]
	v_fma_f64 v[54:55], v[62:63], v[2:3], -v[54:55]
	s_waitcnt vmcnt(4) lgkmcnt(3)
	v_mul_f64 v[62:63], v[74:75], v[6:7]
	v_mul_f64 v[64:65], v[74:75], v[4:5]
	s_waitcnt vmcnt(0) lgkmcnt(1)
	v_mul_f64 v[68:69], v[78:79], v[22:23]
	v_mul_f64 v[70:71], v[78:79], v[20:21]
	;; [unrolled: 1-line block ×3, first 2 shown]
	s_waitcnt lgkmcnt(0)
	v_mul_f64 v[78:79], v[154:155], v[24:25]
	v_fma_f64 v[56:57], v[66:67], v[28:29], v[56:57]
	v_fma_f64 v[66:67], v[66:67], v[30:31], -v[32:33]
	ds_read_b128 v[0:3], v94 offset:3168
	ds_read_b128 v[28:31], v94 offset:4752
	;; [unrolled: 1-line block ×3, first 2 shown]
	v_fma_f64 v[62:63], v[72:73], v[4:5], v[62:63]
	v_fma_f64 v[64:65], v[72:73], v[6:7], -v[64:65]
	v_mul_f64 v[72:73], v[139:140], v[10:11]
	v_fma_f64 v[68:69], v[76:77], v[20:21], v[68:69]
	v_fma_f64 v[70:71], v[76:77], v[22:23], -v[70:71]
	v_mul_f64 v[76:77], v[154:155], v[26:27]
	v_fma_f64 v[74:75], v[137:138], v[10:11], -v[74:75]
	s_waitcnt lgkmcnt(0)
	v_mul_f64 v[10:11], v[124:125], v[34:35]
	v_mul_f64 v[80:81], v[124:125], v[32:33]
	v_fma_f64 v[78:79], v[152:153], v[26:27], -v[78:79]
	v_add_f64 v[26:27], v[42:43], v[38:39]
	v_fma_f64 v[72:73], v[137:138], v[8:9], v[72:73]
	v_add_f64 v[8:9], v[40:41], v[36:37]
	v_fma_f64 v[76:77], v[152:153], v[24:25], v[76:77]
	;; [unrolled: 2-line block ×3, first 2 shown]
	v_fma_f64 v[80:81], v[122:123], v[34:35], -v[80:81]
	v_add_f64 v[10:11], v[14:15], v[42:43]
	v_add_f64 v[32:33], v[48:49], v[44:45]
	v_fma_f64 v[26:27], v[26:27], -0.5, v[14:15]
	v_add_f64 v[34:35], v[40:41], -v[36:37]
	v_fma_f64 v[82:83], v[8:9], -0.5, v[12:13]
	v_add_f64 v[8:9], v[24:25], v[36:37]
	v_add_f64 v[36:37], v[16:17], v[48:49]
	v_add_f64 v[42:43], v[50:51], -v[46:47]
	v_add_f64 v[10:11], v[10:11], v[38:39]
	v_add_f64 v[38:39], v[50:51], v[46:47]
	v_fma_f64 v[40:41], v[32:33], -0.5, v[16:17]
	v_fma_f64 v[14:15], v[34:35], s[2:3], v[26:27]
	v_fma_f64 v[26:27], v[34:35], s[0:1], v[26:27]
	v_add_f64 v[34:35], v[18:19], v[50:51]
	v_add_f64 v[50:51], v[58:59], v[52:53]
	;; [unrolled: 1-line block ×3, first 2 shown]
	v_fma_f64 v[12:13], v[84:85], s[0:1], v[82:83]
	v_fma_f64 v[38:39], v[38:39], -0.5, v[18:19]
	v_fma_f64 v[32:33], v[42:43], s[0:1], v[40:41]
	v_fma_f64 v[36:37], v[42:43], s[2:3], v[40:41]
	v_add_f64 v[42:43], v[60:61], v[54:55]
	v_add_f64 v[18:19], v[34:35], v[46:47]
	v_fma_f64 v[46:47], v[50:51], -0.5, v[0:1]
	v_add_f64 v[50:51], v[2:3], v[60:61]
	v_fma_f64 v[24:25], v[84:85], s[2:3], v[82:83]
	v_add_f64 v[44:45], v[48:49], -v[44:45]
	v_add_f64 v[40:41], v[0:1], v[58:59]
	v_add_f64 v[48:49], v[60:61], -v[54:55]
	v_add_f64 v[60:61], v[56:57], v[62:63]
	v_fma_f64 v[82:83], v[42:43], -0.5, v[2:3]
	ds_read_b128 v[4:7], v94 offset:6336
	ds_read_b128 v[20:23], v94 offset:7920
	v_add_f64 v[2:3], v[50:51], v[54:55]
	v_add_f64 v[50:51], v[28:29], v[56:57]
	v_fma_f64 v[34:35], v[44:45], s[2:3], v[38:39]
	v_fma_f64 v[38:39], v[44:45], s[0:1], v[38:39]
	v_add_f64 v[0:1], v[40:41], v[52:53]
	v_add_f64 v[52:53], v[58:59], -v[52:53]
	v_fma_f64 v[40:41], v[48:49], s[0:1], v[46:47]
	v_fma_f64 v[44:45], v[48:49], s[2:3], v[46:47]
	v_add_f64 v[48:49], v[66:67], v[64:65]
	v_fma_f64 v[54:55], v[60:61], -0.5, v[28:29]
	v_add_f64 v[60:61], v[68:69], v[72:73]
	v_add_f64 v[56:57], v[56:57], -v[62:63]
	v_add_f64 v[28:29], v[50:51], v[62:63]
	s_waitcnt lgkmcnt(1)
	v_add_f64 v[62:63], v[4:5], v[68:69]
	v_add_f64 v[58:59], v[66:67], -v[64:65]
	v_fma_f64 v[42:43], v[52:53], s[2:3], v[82:83]
	v_fma_f64 v[46:47], v[52:53], s[0:1], v[82:83]
	v_fma_f64 v[82:83], v[48:49], -0.5, v[30:31]
	v_fma_f64 v[60:61], v[60:61], -0.5, v[4:5]
	v_add_f64 v[68:69], v[68:69], -v[72:73]
	s_waitcnt lgkmcnt(0)
	v_add_f64 v[4:5], v[62:63], v[72:73]
	v_add_f64 v[62:63], v[76:77], v[86:87]
	;; [unrolled: 1-line block ×3, first 2 shown]
	v_fma_f64 v[48:49], v[58:59], s[0:1], v[54:55]
	v_fma_f64 v[52:53], v[58:59], s[2:3], v[54:55]
	v_fma_f64 v[50:51], v[56:57], s[2:3], v[82:83]
	v_fma_f64 v[54:55], v[56:57], s[0:1], v[82:83]
	s_barrier
	v_fma_f64 v[82:83], v[62:63], -0.5, v[20:21]
	v_add_f64 v[20:21], v[72:73], v[86:87]
	buffer_load_dword v72, off, s[44:47], 0 offset:556 ; 4-byte Folded Reload
	s_waitcnt vmcnt(0)
	ds_write_b128 v72, v[8:11]
	ds_write_b128 v72, v[12:15] offset:528
	ds_write_b128 v72, v[24:27] offset:1056
	buffer_load_dword v8, off, s[44:47], 0 offset:564 ; 4-byte Folded Reload
	s_waitcnt vmcnt(0)
	ds_write_b128 v8, v[16:19]
	ds_write_b128 v8, v[32:35] offset:528
	ds_write_b128 v8, v[36:39] offset:1056
	buffer_load_dword v8, off, s[44:47], 0 offset:524 ; 4-byte Folded Reload
	v_add_f64 v[66:67], v[30:31], v[66:67]
	v_add_f64 v[58:59], v[70:71], v[74:75]
	v_add_f64 v[84:85], v[70:71], -v[74:75]
	v_add_f64 v[76:77], v[76:77], -v[86:87]
	v_add_f64 v[30:31], v[66:67], v[64:65]
	s_waitcnt vmcnt(0)
	ds_write_b128 v8, v[0:3]
	ds_write_b128 v8, v[40:43] offset:528
	ds_write_b128 v8, v[44:47] offset:1056
	ds_write_b128 v132, v[28:31]
	ds_write_b128 v132, v[48:51] offset:528
	ds_write_b128 v132, v[52:55] offset:1056
	buffer_load_dword v0, off, s[44:47], 0 offset:552 ; 4-byte Folded Reload
	v_add_f64 v[66:67], v[6:7], v[70:71]
	v_fma_f64 v[70:71], v[58:59], -0.5, v[6:7]
	v_fma_f64 v[56:57], v[84:85], s[0:1], v[60:61]
	v_fma_f64 v[60:61], v[84:85], s[2:3], v[60:61]
	v_add_f64 v[64:65], v[78:79], v[80:81]
	v_add_f64 v[84:85], v[78:79], -v[80:81]
	v_add_f64 v[78:79], v[22:23], v[78:79]
	v_add_f64 v[6:7], v[66:67], v[74:75]
	v_fma_f64 v[58:59], v[68:69], s[2:3], v[70:71]
	v_fma_f64 v[62:63], v[68:69], s[0:1], v[70:71]
	s_waitcnt vmcnt(0)
	ds_write_b128 v0, v[4:7]
	ds_write_b128 v0, v[56:59] offset:528
	ds_write_b128 v0, v[60:63] offset:1056
	buffer_load_dword v0, off, s[44:47], 0 offset:560 ; 4-byte Folded Reload
	v_fma_f64 v[88:89], v[64:65], -0.5, v[22:23]
	v_add_f64 v[22:23], v[78:79], v[80:81]
	v_fma_f64 v[64:65], v[84:85], s[0:1], v[82:83]
	v_fma_f64 v[68:69], v[84:85], s[2:3], v[82:83]
	v_fma_f64 v[66:67], v[76:77], s[2:3], v[88:89]
	v_fma_f64 v[70:71], v[76:77], s[0:1], v[88:89]
	s_waitcnt vmcnt(0)
	ds_write_b128 v0, v[20:23]
	ds_write_b128 v0, v[64:67] offset:528
	ds_write_b128 v0, v[68:71] offset:1056
	s_waitcnt lgkmcnt(0)
	s_barrier
	ds_read_b128 v[0:3], v94
	ds_read_b128 v[4:7], v94 offset:1584
	ds_read_b128 v[8:11], v94 offset:9504
	;; [unrolled: 1-line block ×13, first 2 shown]
	s_waitcnt lgkmcnt(11)
	v_mul_f64 v[72:73], v[162:163], v[10:11]
	v_mul_f64 v[74:75], v[162:163], v[8:9]
	s_waitcnt lgkmcnt(9)
	v_mul_f64 v[78:79], v[158:159], v[16:17]
	v_mul_f64 v[76:77], v[158:159], v[18:19]
	ds_read_b128 v[56:59], v94 offset:15840
	ds_read_b128 v[60:63], v94 offset:17424
	s_waitcnt lgkmcnt(7)
	v_mul_f64 v[80:81], v[170:171], v[34:35]
	ds_read_b128 v[64:67], v94 offset:25344
	ds_read_b128 v[68:71], v94 offset:26928
	s_waitcnt lgkmcnt(0)
	v_fma_f64 v[8:9], v[160:161], v[8:9], v[72:73]
	v_mul_f64 v[72:73], v[162:163], v[14:15]
	v_fma_f64 v[10:11], v[160:161], v[10:11], -v[74:75]
	v_mul_f64 v[74:75], v[162:163], v[12:13]
	v_fma_f64 v[18:19], v[156:157], v[18:19], -v[78:79]
	v_mul_f64 v[78:79], v[158:159], v[20:21]
	v_fma_f64 v[16:17], v[156:157], v[16:17], v[76:77]
	v_mul_f64 v[76:77], v[158:159], v[22:23]
	s_barrier
	v_fma_f64 v[72:73], v[160:161], v[12:13], v[72:73]
	v_mul_f64 v[12:13], v[170:171], v[32:33]
	v_fma_f64 v[74:75], v[160:161], v[14:15], -v[74:75]
	v_mul_f64 v[14:15], v[166:167], v[42:43]
	v_fma_f64 v[22:23], v[156:157], v[22:23], -v[78:79]
	v_mul_f64 v[78:79], v[178:179], v[38:39]
	v_fma_f64 v[20:21], v[156:157], v[20:21], v[76:77]
	v_mul_f64 v[76:77], v[166:167], v[40:41]
	v_fma_f64 v[32:33], v[168:169], v[32:33], v[80:81]
	v_fma_f64 v[34:35], v[168:169], v[34:35], -v[12:13]
	v_mul_f64 v[12:13], v[178:179], v[36:37]
	v_fma_f64 v[40:41], v[164:165], v[40:41], v[14:15]
	v_mul_f64 v[14:15], v[174:175], v[46:47]
	v_fma_f64 v[78:79], v[176:177], v[36:37], v[78:79]
	v_mul_f64 v[36:37], v[186:187], v[56:57]
	v_fma_f64 v[42:43], v[164:165], v[42:43], -v[76:77]
	v_mul_f64 v[76:77], v[174:175], v[44:45]
	v_mul_f64 v[80:81], v[186:187], v[58:59]
	v_fma_f64 v[82:83], v[176:177], v[38:39], -v[12:13]
	v_mul_f64 v[12:13], v[254:255], v[66:67]
	v_fma_f64 v[44:45], v[172:173], v[44:45], v[14:15]
	v_mul_f64 v[14:15], v[254:255], v[64:65]
	v_mul_f64 v[38:39], v[194:195], v[62:63]
	v_fma_f64 v[58:59], v[184:185], v[58:59], -v[36:37]
	v_mul_f64 v[36:37], v[194:195], v[60:61]
	v_fma_f64 v[46:47], v[172:173], v[46:47], -v[76:77]
	v_fma_f64 v[76:77], v[184:185], v[56:57], v[80:81]
	v_fma_f64 v[64:65], v[252:253], v[64:65], v[12:13]
	v_add_f64 v[12:13], v[8:9], v[16:17]
	v_fma_f64 v[66:67], v[252:253], v[66:67], -v[14:15]
	v_mul_f64 v[14:15], v[190:191], v[70:71]
	v_fma_f64 v[80:81], v[192:193], v[60:61], v[38:39]
	v_add_f64 v[38:39], v[0:1], v[8:9]
	v_fma_f64 v[62:63], v[192:193], v[62:63], -v[36:37]
	v_add_f64 v[36:37], v[10:11], v[18:19]
	v_add_f64 v[60:61], v[10:11], -v[18:19]
	v_add_f64 v[10:11], v[2:3], v[10:11]
	v_mul_f64 v[56:57], v[190:191], v[68:69]
	v_fma_f64 v[12:13], v[12:13], -0.5, v[0:1]
	v_fma_f64 v[68:69], v[188:189], v[68:69], v[14:15]
	v_add_f64 v[0:1], v[38:39], v[16:17]
	v_add_f64 v[14:15], v[72:73], v[20:21]
	v_fma_f64 v[36:37], v[36:37], -0.5, v[2:3]
	v_add_f64 v[16:17], v[8:9], -v[16:17]
	v_add_f64 v[2:3], v[10:11], v[18:19]
	v_add_f64 v[18:19], v[74:75], v[22:23]
	v_fma_f64 v[70:71], v[188:189], v[70:71], -v[56:57]
	v_add_f64 v[38:39], v[4:5], v[72:73]
	v_fma_f64 v[8:9], v[60:61], s[0:1], v[12:13]
	v_fma_f64 v[56:57], v[14:15], -0.5, v[4:5]
	v_fma_f64 v[12:13], v[60:61], s[2:3], v[12:13]
	v_fma_f64 v[10:11], v[16:17], s[2:3], v[36:37]
	;; [unrolled: 1-line block ×3, first 2 shown]
	v_add_f64 v[36:37], v[6:7], v[74:75]
	v_add_f64 v[60:61], v[74:75], -v[22:23]
	v_fma_f64 v[74:75], v[18:19], -0.5, v[6:7]
	v_add_f64 v[72:73], v[72:73], -v[20:21]
	v_add_f64 v[4:5], v[38:39], v[20:21]
	v_add_f64 v[38:39], v[32:33], v[40:41]
	;; [unrolled: 1-line block ×4, first 2 shown]
	v_fma_f64 v[16:17], v[60:61], s[0:1], v[56:57]
	v_fma_f64 v[20:21], v[60:61], s[2:3], v[56:57]
	;; [unrolled: 1-line block ×4, first 2 shown]
	ds_write_b128 v94, v[0:3]
	ds_write_b128 v94, v[8:11] offset:1584
	ds_write_b128 v94, v[12:15] offset:3168
	;; [unrolled: 1-line block ×5, first 2 shown]
	buffer_load_dword v0, off, s[44:47], 0 offset:528 ; 4-byte Folded Reload
	v_add_f64 v[56:57], v[24:25], v[32:33]
	v_add_f64 v[36:37], v[34:35], v[42:43]
	v_add_f64 v[60:61], v[34:35], -v[42:43]
	v_add_f64 v[34:35], v[26:27], v[34:35]
	v_fma_f64 v[38:39], v[38:39], -0.5, v[24:25]
	v_add_f64 v[74:75], v[82:83], -v[46:47]
	v_add_f64 v[86:87], v[58:59], -v[66:67]
	v_fma_f64 v[84:85], v[84:85], -0.5, v[48:49]
	v_add_f64 v[24:25], v[56:57], v[40:41]
	v_fma_f64 v[72:73], v[36:37], -0.5, v[26:27]
	v_add_f64 v[40:41], v[32:33], -v[40:41]
	v_add_f64 v[26:27], v[34:35], v[42:43]
	v_fma_f64 v[32:33], v[60:61], s[0:1], v[38:39]
	v_fma_f64 v[36:37], v[60:61], s[2:3], v[38:39]
	v_add_f64 v[56:57], v[78:79], v[44:45]
	v_add_f64 v[42:43], v[82:83], v[46:47]
	v_add_f64 v[60:61], v[28:29], v[78:79]
	v_add_f64 v[78:79], v[78:79], -v[44:45]
	v_fma_f64 v[34:35], v[40:41], s[2:3], v[72:73]
	v_fma_f64 v[38:39], v[40:41], s[0:1], v[72:73]
	s_waitcnt vmcnt(0)
	ds_write_b128 v0, v[24:27] offset:9504
	ds_write_b128 v0, v[32:35] offset:11088
	;; [unrolled: 1-line block ×3, first 2 shown]
	buffer_load_dword v0, off, s[44:47], 0 offset:532 ; 4-byte Folded Reload
	v_add_f64 v[72:73], v[30:31], v[82:83]
	v_fma_f64 v[56:57], v[56:57], -0.5, v[28:29]
	v_fma_f64 v[82:83], v[42:43], -0.5, v[30:31]
	v_add_f64 v[28:29], v[60:61], v[44:45]
	v_add_f64 v[60:61], v[48:49], v[76:77]
	;; [unrolled: 1-line block ×3, first 2 shown]
	v_fma_f64 v[40:41], v[74:75], s[0:1], v[56:57]
	v_fma_f64 v[42:43], v[78:79], s[2:3], v[82:83]
	;; [unrolled: 1-line block ×4, first 2 shown]
	s_waitcnt vmcnt(0)
	ds_write_b128 v0, v[28:31] offset:14256
	ds_write_b128 v0, v[40:43] offset:15840
	;; [unrolled: 1-line block ×3, first 2 shown]
	buffer_load_dword v0, off, s[44:47], 0 offset:536 ; 4-byte Folded Reload
	v_add_f64 v[72:73], v[58:59], v[66:67]
	v_add_f64 v[58:59], v[50:51], v[58:59]
	v_add_f64 v[48:49], v[60:61], v[64:65]
	v_add_f64 v[64:65], v[76:77], -v[64:65]
	v_fma_f64 v[56:57], v[86:87], s[0:1], v[84:85]
	v_fma_f64 v[60:61], v[86:87], s[2:3], v[84:85]
	v_add_f64 v[78:79], v[62:63], v[70:71]
	v_add_f64 v[82:83], v[62:63], -v[70:71]
	v_fma_f64 v[72:73], v[72:73], -0.5, v[50:51]
	v_add_f64 v[50:51], v[58:59], v[66:67]
	v_add_f64 v[84:85], v[54:55], v[62:63]
	;; [unrolled: 1-line block ×4, first 2 shown]
	v_add_f64 v[80:81], v[80:81], -v[68:69]
	v_fma_f64 v[78:79], v[78:79], -0.5, v[54:55]
	v_fma_f64 v[58:59], v[64:65], s[2:3], v[72:73]
	v_fma_f64 v[62:63], v[64:65], s[0:1], v[72:73]
	s_waitcnt vmcnt(0)
	ds_write_b128 v0, v[48:51] offset:19008
	ds_write_b128 v0, v[56:59] offset:20592
	;; [unrolled: 1-line block ×3, first 2 shown]
	buffer_load_dword v0, off, s[44:47], 0 offset:540 ; 4-byte Folded Reload
	v_fma_f64 v[74:75], v[74:75], -0.5, v[52:53]
	v_add_f64 v[52:53], v[76:77], v[68:69]
	v_add_f64 v[54:55], v[84:85], v[70:71]
	v_fma_f64 v[66:67], v[80:81], s[2:3], v[78:79]
	v_fma_f64 v[70:71], v[80:81], s[0:1], v[78:79]
	;; [unrolled: 1-line block ×4, first 2 shown]
	s_waitcnt vmcnt(0)
	ds_write_b128 v0, v[52:55] offset:23760
	ds_write_b128 v0, v[64:67] offset:25344
	;; [unrolled: 1-line block ×3, first 2 shown]
	s_waitcnt lgkmcnt(0)
	s_barrier
	ds_read_b128 v[0:3], v94
	ds_read_b128 v[4:7], v94 offset:1584
	ds_read_b128 v[8:11], v94 offset:9504
	ds_read_b128 v[12:15], v94 offset:11088
	ds_read_b128 v[16:19], v94 offset:19008
	ds_read_b128 v[20:23], v94 offset:20592
	ds_read_b128 v[24:27], v94 offset:3168
	ds_read_b128 v[28:31], v94 offset:4752
	ds_read_b128 v[32:35], v94 offset:12672
	ds_read_b128 v[36:39], v94 offset:14256
	ds_read_b128 v[40:43], v94 offset:22176
	ds_read_b128 v[44:47], v94 offset:23760
	ds_read_b128 v[48:51], v94 offset:6336
	ds_read_b128 v[52:55], v94 offset:7920
	s_waitcnt lgkmcnt(11)
	v_mul_f64 v[72:73], v[202:203], v[10:11]
	v_mul_f64 v[74:75], v[202:203], v[8:9]
	s_waitcnt lgkmcnt(9)
	v_mul_f64 v[78:79], v[198:199], v[16:17]
	v_mul_f64 v[76:77], v[198:199], v[18:19]
	ds_read_b128 v[56:59], v94 offset:15840
	ds_read_b128 v[60:63], v94 offset:17424
	s_waitcnt lgkmcnt(7)
	v_mul_f64 v[80:81], v[218:219], v[34:35]
	ds_read_b128 v[64:67], v94 offset:25344
	ds_read_b128 v[68:71], v94 offset:26928
	s_waitcnt lgkmcnt(0)
	v_fma_f64 v[8:9], v[200:201], v[8:9], v[72:73]
	v_mul_f64 v[72:73], v[210:211], v[14:15]
	v_fma_f64 v[10:11], v[200:201], v[10:11], -v[74:75]
	v_mul_f64 v[74:75], v[210:211], v[12:13]
	v_fma_f64 v[18:19], v[196:197], v[18:19], -v[78:79]
	v_mul_f64 v[78:79], v[206:207], v[20:21]
	v_fma_f64 v[16:17], v[196:197], v[16:17], v[76:77]
	v_mul_f64 v[76:77], v[206:207], v[22:23]
	s_barrier
	v_fma_f64 v[72:73], v[208:209], v[12:13], v[72:73]
	v_mul_f64 v[12:13], v[218:219], v[32:33]
	v_fma_f64 v[74:75], v[208:209], v[14:15], -v[74:75]
	v_mul_f64 v[14:15], v[214:215], v[42:43]
	v_fma_f64 v[22:23], v[204:205], v[22:23], -v[78:79]
	v_mul_f64 v[78:79], v[202:203], v[38:39]
	v_fma_f64 v[20:21], v[204:205], v[20:21], v[76:77]
	v_mul_f64 v[76:77], v[214:215], v[40:41]
	v_fma_f64 v[32:33], v[216:217], v[32:33], v[80:81]
	v_fma_f64 v[34:35], v[216:217], v[34:35], -v[12:13]
	v_mul_f64 v[12:13], v[202:203], v[36:37]
	v_fma_f64 v[40:41], v[212:213], v[40:41], v[14:15]
	v_mul_f64 v[14:15], v[198:199], v[46:47]
	v_fma_f64 v[78:79], v[200:201], v[36:37], v[78:79]
	v_mul_f64 v[36:37], v[210:211], v[56:57]
	v_fma_f64 v[42:43], v[212:213], v[42:43], -v[76:77]
	v_mul_f64 v[76:77], v[198:199], v[44:45]
	v_mul_f64 v[80:81], v[210:211], v[58:59]
	v_fma_f64 v[82:83], v[200:201], v[38:39], -v[12:13]
	v_mul_f64 v[12:13], v[206:207], v[66:67]
	v_fma_f64 v[44:45], v[196:197], v[44:45], v[14:15]
	v_mul_f64 v[14:15], v[206:207], v[64:65]
	v_mul_f64 v[38:39], v[218:219], v[62:63]
	v_fma_f64 v[58:59], v[208:209], v[58:59], -v[36:37]
	v_mul_f64 v[36:37], v[218:219], v[60:61]
	v_fma_f64 v[46:47], v[196:197], v[46:47], -v[76:77]
	v_fma_f64 v[76:77], v[208:209], v[56:57], v[80:81]
	v_fma_f64 v[64:65], v[204:205], v[64:65], v[12:13]
	v_add_f64 v[12:13], v[8:9], v[16:17]
	v_fma_f64 v[66:67], v[204:205], v[66:67], -v[14:15]
	v_mul_f64 v[14:15], v[214:215], v[70:71]
	v_fma_f64 v[80:81], v[216:217], v[60:61], v[38:39]
	v_add_f64 v[38:39], v[0:1], v[8:9]
	v_fma_f64 v[62:63], v[216:217], v[62:63], -v[36:37]
	v_add_f64 v[36:37], v[10:11], v[18:19]
	v_mul_f64 v[56:57], v[214:215], v[68:69]
	v_fma_f64 v[12:13], v[12:13], -0.5, v[0:1]
	v_add_f64 v[60:61], v[10:11], -v[18:19]
	v_fma_f64 v[68:69], v[212:213], v[68:69], v[14:15]
	v_add_f64 v[10:11], v[2:3], v[10:11]
	v_add_f64 v[0:1], v[38:39], v[16:17]
	;; [unrolled: 1-line block ×3, first 2 shown]
	v_fma_f64 v[36:37], v[36:37], -0.5, v[2:3]
	v_add_f64 v[16:17], v[8:9], -v[16:17]
	v_add_f64 v[38:39], v[4:5], v[72:73]
	v_fma_f64 v[70:71], v[212:213], v[70:71], -v[56:57]
	v_fma_f64 v[8:9], v[60:61], s[0:1], v[12:13]
	v_fma_f64 v[12:13], v[60:61], s[2:3], v[12:13]
	v_add_f64 v[2:3], v[10:11], v[18:19]
	v_add_f64 v[18:19], v[74:75], v[22:23]
	v_fma_f64 v[56:57], v[14:15], -0.5, v[4:5]
	v_add_f64 v[60:61], v[74:75], -v[22:23]
	v_fma_f64 v[10:11], v[16:17], s[2:3], v[36:37]
	v_fma_f64 v[14:15], v[16:17], s[0:1], v[36:37]
	v_add_f64 v[36:37], v[6:7], v[74:75]
	v_add_f64 v[4:5], v[38:39], v[20:21]
	;; [unrolled: 1-line block ×3, first 2 shown]
	v_fma_f64 v[74:75], v[18:19], -0.5, v[6:7]
	v_add_f64 v[72:73], v[72:73], -v[20:21]
	v_fma_f64 v[16:17], v[60:61], s[0:1], v[56:57]
	v_fma_f64 v[20:21], v[60:61], s[2:3], v[56:57]
	v_add_f64 v[56:57], v[24:25], v[32:33]
	v_add_f64 v[6:7], v[36:37], v[22:23]
	;; [unrolled: 1-line block ×3, first 2 shown]
	v_add_f64 v[60:61], v[34:35], -v[42:43]
	v_add_f64 v[34:35], v[26:27], v[34:35]
	v_fma_f64 v[38:39], v[38:39], -0.5, v[24:25]
	v_fma_f64 v[18:19], v[72:73], s[2:3], v[74:75]
	v_fma_f64 v[22:23], v[72:73], s[0:1], v[74:75]
	v_add_f64 v[24:25], v[56:57], v[40:41]
	v_add_f64 v[56:57], v[78:79], v[44:45]
	v_fma_f64 v[72:73], v[36:37], -0.5, v[26:27]
	v_add_f64 v[40:41], v[32:33], -v[40:41]
	v_add_f64 v[26:27], v[34:35], v[42:43]
	v_add_f64 v[42:43], v[82:83], v[46:47]
	v_fma_f64 v[32:33], v[60:61], s[0:1], v[38:39]
	v_fma_f64 v[36:37], v[60:61], s[2:3], v[38:39]
	v_add_f64 v[60:61], v[28:29], v[78:79]
	v_add_f64 v[84:85], v[76:77], v[64:65]
	v_fma_f64 v[56:57], v[56:57], -0.5, v[28:29]
	v_add_f64 v[74:75], v[82:83], -v[46:47]
	v_fma_f64 v[34:35], v[40:41], s[2:3], v[72:73]
	v_fma_f64 v[38:39], v[40:41], s[0:1], v[72:73]
	v_add_f64 v[72:73], v[30:31], v[82:83]
	v_fma_f64 v[82:83], v[42:43], -0.5, v[30:31]
	v_add_f64 v[78:79], v[78:79], -v[44:45]
	v_add_f64 v[28:29], v[60:61], v[44:45]
	v_add_f64 v[60:61], v[48:49], v[76:77]
	v_fma_f64 v[84:85], v[84:85], -0.5, v[48:49]
	v_add_f64 v[86:87], v[58:59], -v[66:67]
	v_fma_f64 v[40:41], v[74:75], s[0:1], v[56:57]
	v_fma_f64 v[44:45], v[74:75], s[2:3], v[56:57]
	v_add_f64 v[30:31], v[72:73], v[46:47]
	v_fma_f64 v[42:43], v[78:79], s[2:3], v[82:83]
	v_add_f64 v[72:73], v[58:59], v[66:67]
	;; [unrolled: 2-line block ×3, first 2 shown]
	v_add_f64 v[78:79], v[62:63], v[70:71]
	v_add_f64 v[48:49], v[60:61], v[64:65]
	v_fma_f64 v[56:57], v[86:87], s[0:1], v[84:85]
	v_fma_f64 v[60:61], v[86:87], s[2:3], v[84:85]
	v_add_f64 v[58:59], v[50:51], v[58:59]
	v_add_f64 v[64:65], v[76:77], -v[64:65]
	v_add_f64 v[76:77], v[52:53], v[80:81]
	v_add_f64 v[84:85], v[54:55], v[62:63]
	v_fma_f64 v[72:73], v[72:73], -0.5, v[50:51]
	v_fma_f64 v[74:75], v[74:75], -0.5, v[52:53]
	v_add_f64 v[82:83], v[62:63], -v[70:71]
	v_fma_f64 v[78:79], v[78:79], -0.5, v[54:55]
	v_add_f64 v[80:81], v[80:81], -v[68:69]
	v_add_f64 v[50:51], v[58:59], v[66:67]
	v_add_f64 v[52:53], v[76:77], v[68:69]
	;; [unrolled: 1-line block ×3, first 2 shown]
	v_fma_f64 v[58:59], v[64:65], s[2:3], v[72:73]
	v_fma_f64 v[62:63], v[64:65], s[0:1], v[72:73]
	;; [unrolled: 1-line block ×6, first 2 shown]
	ds_write_b128 v94, v[0:3]
	ds_write_b128 v94, v[8:11] offset:4752
	ds_write_b128 v94, v[12:15] offset:9504
	;; [unrolled: 1-line block ×17, first 2 shown]
	s_waitcnt lgkmcnt(0)
	s_barrier
	ds_read_b128 v[0:3], v94 offset:14256
	ds_read_b128 v[4:7], v94
	ds_read_b128 v[8:11], v94 offset:1584
	ds_read_b128 v[12:15], v94 offset:15840
	;; [unrolled: 1-line block ×12, first 2 shown]
	s_waitcnt lgkmcnt(13)
	v_mul_f64 v[72:73], v[222:223], v[2:3]
	v_mul_f64 v[74:75], v[222:223], v[0:1]
	s_waitcnt lgkmcnt(10)
	v_mul_f64 v[76:77], v[226:227], v[14:15]
	v_mul_f64 v[78:79], v[226:227], v[12:13]
	;; [unrolled: 3-line block ×3, first 2 shown]
	ds_read_b128 v[56:59], v94 offset:9504
	ds_read_b128 v[60:63], v94 offset:11088
	;; [unrolled: 1-line block ×4, first 2 shown]
	s_waitcnt lgkmcnt(6)
	v_mul_f64 v[84:85], v[242:243], v[46:47]
	v_fma_f64 v[0:1], v[220:221], v[0:1], v[72:73]
	v_fma_f64 v[2:3], v[220:221], v[2:3], -v[74:75]
	v_fma_f64 v[12:13], v[224:225], v[12:13], v[76:77]
	v_fma_f64 v[14:15], v[224:225], v[14:15], -v[78:79]
	v_mul_f64 v[72:73], v[230:231], v[18:19]
	v_mul_f64 v[74:75], v[230:231], v[16:17]
	;; [unrolled: 1-line block ×5, first 2 shown]
	v_fma_f64 v[32:33], v[236:237], v[32:33], v[80:81]
	v_fma_f64 v[34:35], v[236:237], v[34:35], -v[82:83]
	s_waitcnt lgkmcnt(0)
	v_mul_f64 v[80:81], v[250:251], v[70:71]
	v_fma_f64 v[16:17], v[228:229], v[16:17], v[72:73]
	v_fma_f64 v[18:19], v[228:229], v[18:19], -v[74:75]
	v_fma_f64 v[28:29], v[232:233], v[28:29], v[76:77]
	v_fma_f64 v[30:31], v[232:233], v[30:31], -v[78:79]
	v_mul_f64 v[72:73], v[143:144], v[50:51]
	v_mul_f64 v[74:75], v[143:144], v[48:49]
	;; [unrolled: 1-line block ×5, first 2 shown]
	v_fma_f64 v[44:45], v[240:241], v[44:45], v[84:85]
	v_fma_f64 v[46:47], v[240:241], v[46:47], -v[86:87]
	v_add_f64 v[0:1], v[4:5], -v[0:1]
	v_add_f64 v[2:3], v[6:7], -v[2:3]
	v_fma_f64 v[48:49], v[141:142], v[48:49], v[72:73]
	v_fma_f64 v[50:51], v[141:142], v[50:51], -v[74:75]
	v_fma_f64 v[64:65], v[244:245], v[64:65], v[76:77]
	v_fma_f64 v[66:67], v[244:245], v[66:67], -v[78:79]
	;; [unrolled: 2-line block ×3, first 2 shown]
	v_add_f64 v[12:13], v[8:9], -v[12:13]
	v_add_f64 v[14:15], v[10:11], -v[14:15]
	;; [unrolled: 1-line block ×6, first 2 shown]
	v_fma_f64 v[4:5], v[4:5], 2.0, -v[0:1]
	v_fma_f64 v[6:7], v[6:7], 2.0, -v[2:3]
	v_add_f64 v[32:33], v[36:37], -v[32:33]
	v_add_f64 v[34:35], v[38:39], -v[34:35]
	;; [unrolled: 1-line block ×10, first 2 shown]
	v_fma_f64 v[8:9], v[8:9], 2.0, -v[12:13]
	v_fma_f64 v[10:11], v[10:11], 2.0, -v[14:15]
	;; [unrolled: 1-line block ×16, first 2 shown]
	ds_write_b128 v94, v[4:7]
	ds_write_b128 v94, v[0:3] offset:14256
	ds_write_b128 v94, v[8:11] offset:1584
	;; [unrolled: 1-line block ×17, first 2 shown]
	s_waitcnt lgkmcnt(0)
	s_barrier
	ds_read_b128 v[0:3], v94
	buffer_load_dword v4, off, s[44:47], 0 offset:64 ; 4-byte Folded Reload
	buffer_load_dword v5, off, s[44:47], 0 offset:68 ; 4-byte Folded Reload
	s_mov_b32 s2, 0x7210aa18
	s_mov_b32 s3, 0x3f426369
	s_waitcnt vmcnt(1)
	v_mov_b32_e32 v14, v4
	s_waitcnt vmcnt(0)
	ds_read_b128 v[4:7], v94 offset:2592
	buffer_load_dword v18, off, s[44:47], 0 offset:236 ; 4-byte Folded Reload
	buffer_load_dword v19, off, s[44:47], 0 offset:240 ; 4-byte Folded Reload
	;; [unrolled: 1-line block ×5, first 2 shown]
	v_mad_u64_u32 v[8:9], s[0:1], s10, v14, 0
	s_waitcnt vmcnt(1) lgkmcnt(1)
	v_mul_f64 v[10:11], v[20:21], v[2:3]
	v_mul_f64 v[12:13], v[20:21], v[0:1]
	v_fma_f64 v[0:1], v[18:19], v[0:1], v[10:11]
	v_fma_f64 v[2:3], v[18:19], v[2:3], -v[12:13]
	buffer_load_dword v19, off, s[44:47], 0 offset:172 ; 4-byte Folded Reload
	buffer_load_dword v20, off, s[44:47], 0 offset:176 ; 4-byte Folded Reload
	buffer_load_dword v21, off, s[44:47], 0 offset:180 ; 4-byte Folded Reload
	buffer_load_dword v22, off, s[44:47], 0 offset:184 ; 4-byte Folded Reload
	v_mad_u64_u32 v[14:15], s[0:1], s11, v14, v[9:10]
	s_waitcnt vmcnt(4)
	v_mad_u64_u32 v[15:16], s[0:1], s8, v17, 0
	v_mov_b32_e32 v9, v14
	v_mul_f64 v[0:1], v[0:1], s[2:3]
	v_mov_b32_e32 v10, v16
	v_mad_u64_u32 v[10:11], s[0:1], s9, v17, v[10:11]
	v_mul_f64 v[2:3], v[2:3], s[2:3]
	v_lshlrev_b64 v[8:9], 4, v[8:9]
	v_mov_b32_e32 v16, v10
	v_mov_b32_e32 v14, s7
	v_add_co_u32_e64 v17, s[0:1], s6, v8
	v_addc_co_u32_e64 v18, s[0:1], v14, v9, s[0:1]
	v_lshlrev_b64 v[8:9], 4, v[15:16]
	v_add_co_u32_e64 v14, s[0:1], v17, v8
	v_addc_co_u32_e64 v15, s[0:1], v18, v9, s[0:1]
	global_store_dwordx4 v[14:15], v[0:3], off
	s_mul_i32 s0, s9, 0xa2
	s_mul_hi_u32 s1, s8, 0xa2
	s_add_i32 s1, s1, s0
	s_mul_i32 s0, s8, 0xa2
	s_lshl_b64 s[4:5], s[0:1], 4
	v_mov_b32_e32 v26, s5
	v_add_co_u32_e64 v14, s[0:1], s4, v14
	v_addc_co_u32_e64 v15, s[0:1], v15, v26, s[0:1]
	s_waitcnt vmcnt(1) lgkmcnt(0)
	v_mul_f64 v[10:11], v[21:22], v[6:7]
	v_mul_f64 v[12:13], v[21:22], v[4:5]
	v_fma_f64 v[10:11], v[19:20], v[4:5], v[10:11]
	v_fma_f64 v[12:13], v[19:20], v[6:7], -v[12:13]
	ds_read_b128 v[4:7], v94 offset:5184
	v_mul_f64 v[0:1], v[10:11], s[2:3]
	ds_read_b128 v[8:11], v94 offset:7776
	buffer_load_dword v18, off, s[44:47], 0 offset:204 ; 4-byte Folded Reload
	buffer_load_dword v19, off, s[44:47], 0 offset:208 ; 4-byte Folded Reload
	;; [unrolled: 1-line block ×4, first 2 shown]
	v_mul_f64 v[2:3], v[12:13], s[2:3]
	s_waitcnt vmcnt(0) lgkmcnt(1)
	v_mul_f64 v[12:13], v[20:21], v[6:7]
	v_mul_f64 v[16:17], v[20:21], v[4:5]
	buffer_load_dword v20, off, s[44:47], 0 offset:92 ; 4-byte Folded Reload
	buffer_load_dword v21, off, s[44:47], 0 offset:96 ; 4-byte Folded Reload
	;; [unrolled: 1-line block ×4, first 2 shown]
	v_fma_f64 v[4:5], v[18:19], v[4:5], v[12:13]
	v_fma_f64 v[12:13], v[18:19], v[6:7], -v[16:17]
	global_store_dwordx4 v[14:15], v[0:3], off
	v_add_co_u32_e64 v14, s[0:1], s4, v14
	v_addc_co_u32_e64 v15, s[0:1], v15, v26, s[0:1]
	v_mul_f64 v[0:1], v[4:5], s[2:3]
	ds_read_b128 v[4:7], v94 offset:10368
	v_mul_f64 v[2:3], v[12:13], s[2:3]
	s_waitcnt vmcnt(1) lgkmcnt(1)
	v_mul_f64 v[16:17], v[22:23], v[10:11]
	v_mul_f64 v[18:19], v[22:23], v[8:9]
	v_fma_f64 v[12:13], v[20:21], v[8:9], v[16:17]
	v_fma_f64 v[16:17], v[20:21], v[10:11], -v[18:19]
	ds_read_b128 v[8:11], v94 offset:12960
	buffer_load_dword v22, off, s[44:47], 0 offset:108 ; 4-byte Folded Reload
	buffer_load_dword v23, off, s[44:47], 0 offset:112 ; 4-byte Folded Reload
	;; [unrolled: 1-line block ×4, first 2 shown]
	s_waitcnt vmcnt(0) lgkmcnt(1)
	v_mul_f64 v[18:19], v[24:25], v[6:7]
	v_mul_f64 v[20:21], v[24:25], v[4:5]
	global_store_dwordx4 v[14:15], v[0:3], off
	v_add_co_u32_e64 v14, s[0:1], s4, v14
	v_mul_f64 v[0:1], v[12:13], s[2:3]
	v_mul_f64 v[2:3], v[16:17], s[2:3]
	v_addc_co_u32_e64 v15, s[0:1], v15, v26, s[0:1]
	v_fma_f64 v[4:5], v[22:23], v[4:5], v[18:19]
	v_fma_f64 v[12:13], v[22:23], v[6:7], -v[20:21]
	buffer_load_dword v20, off, s[44:47], 0 offset:220 ; 4-byte Folded Reload
	buffer_load_dword v21, off, s[44:47], 0 offset:224 ; 4-byte Folded Reload
	;; [unrolled: 1-line block ×4, first 2 shown]
	s_waitcnt vmcnt(0) lgkmcnt(0)
	v_mul_f64 v[16:17], v[22:23], v[10:11]
	v_mul_f64 v[18:19], v[22:23], v[8:9]
	global_store_dwordx4 v[14:15], v[0:3], off
	v_add_co_u32_e64 v14, s[0:1], s4, v14
	v_mul_f64 v[0:1], v[4:5], s[2:3]
	ds_read_b128 v[4:7], v94 offset:15552
	v_mul_f64 v[2:3], v[12:13], s[2:3]
	v_fma_f64 v[12:13], v[20:21], v[8:9], v[16:17]
	v_fma_f64 v[16:17], v[20:21], v[10:11], -v[18:19]
	ds_read_b128 v[8:11], v94 offset:18144
	buffer_load_dword v22, off, s[44:47], 0 offset:124 ; 4-byte Folded Reload
	buffer_load_dword v23, off, s[44:47], 0 offset:128 ; 4-byte Folded Reload
	;; [unrolled: 1-line block ×4, first 2 shown]
	v_addc_co_u32_e64 v15, s[0:1], v15, v26, s[0:1]
	global_store_dwordx4 v[14:15], v[0:3], off
	s_nop 0
	v_mul_f64 v[0:1], v[12:13], s[2:3]
	v_mul_f64 v[2:3], v[16:17], s[2:3]
	v_add_co_u32_e64 v14, s[0:1], s4, v14
	v_addc_co_u32_e64 v15, s[0:1], v15, v26, s[0:1]
	s_waitcnt vmcnt(1) lgkmcnt(1)
	v_mul_f64 v[18:19], v[24:25], v[6:7]
	v_mul_f64 v[20:21], v[24:25], v[4:5]
	v_fma_f64 v[4:5], v[22:23], v[4:5], v[18:19]
	v_fma_f64 v[12:13], v[22:23], v[6:7], -v[20:21]
	buffer_load_dword v20, off, s[44:47], 0 offset:140 ; 4-byte Folded Reload
	buffer_load_dword v21, off, s[44:47], 0 offset:144 ; 4-byte Folded Reload
	;; [unrolled: 1-line block ×4, first 2 shown]
	s_waitcnt vmcnt(0) lgkmcnt(0)
	v_mul_f64 v[16:17], v[22:23], v[10:11]
	v_mul_f64 v[18:19], v[22:23], v[8:9]
	global_store_dwordx4 v[14:15], v[0:3], off
	v_add_co_u32_e64 v22, s[0:1], s4, v14
	v_mul_f64 v[0:1], v[4:5], s[2:3]
	ds_read_b128 v[4:7], v94 offset:20736
	v_mul_f64 v[2:3], v[12:13], s[2:3]
	v_fma_f64 v[12:13], v[20:21], v[8:9], v[16:17]
	v_fma_f64 v[16:17], v[20:21], v[10:11], -v[18:19]
	ds_read_b128 v[8:11], v94 offset:23328
	buffer_load_dword v27, off, s[44:47], 0 offset:156 ; 4-byte Folded Reload
	buffer_load_dword v28, off, s[44:47], 0 offset:160 ; 4-byte Folded Reload
	;; [unrolled: 1-line block ×4, first 2 shown]
	v_addc_co_u32_e64 v23, s[0:1], v15, v26, s[0:1]
	global_store_dwordx4 v[22:23], v[0:3], off
	s_nop 0
	v_mul_f64 v[0:1], v[12:13], s[2:3]
	ds_read_b128 v[12:15], v94 offset:25920
	v_mul_f64 v[2:3], v[16:17], s[2:3]
	v_add_co_u32_e64 v22, s[0:1], s4, v22
	v_addc_co_u32_e64 v23, s[0:1], v23, v26, s[0:1]
	s_waitcnt vmcnt(1) lgkmcnt(2)
	v_mul_f64 v[18:19], v[29:30], v[6:7]
	v_mul_f64 v[20:21], v[29:30], v[4:5]
	v_fma_f64 v[4:5], v[27:28], v[4:5], v[18:19]
	v_fma_f64 v[6:7], v[27:28], v[6:7], -v[20:21]
	buffer_load_dword v27, off, s[44:47], 0 offset:76 ; 4-byte Folded Reload
	buffer_load_dword v28, off, s[44:47], 0 offset:80 ; 4-byte Folded Reload
	;; [unrolled: 1-line block ×4, first 2 shown]
	s_waitcnt vmcnt(0) lgkmcnt(1)
	v_mul_f64 v[16:17], v[29:30], v[10:11]
	v_mul_f64 v[18:19], v[29:30], v[8:9]
	buffer_load_dword v29, off, s[44:47], 0 offset:188 ; 4-byte Folded Reload
	buffer_load_dword v30, off, s[44:47], 0 offset:192 ; 4-byte Folded Reload
	;; [unrolled: 1-line block ×4, first 2 shown]
	s_waitcnt vmcnt(0) lgkmcnt(0)
	v_mul_f64 v[20:21], v[31:32], v[14:15]
	v_mul_f64 v[24:25], v[31:32], v[12:13]
	global_store_dwordx4 v[22:23], v[0:3], off
	s_nop 0
	v_mul_f64 v[0:1], v[4:5], s[2:3]
	v_mul_f64 v[2:3], v[6:7], s[2:3]
	v_fma_f64 v[4:5], v[27:28], v[8:9], v[16:17]
	v_fma_f64 v[6:7], v[27:28], v[10:11], -v[18:19]
	v_fma_f64 v[8:9], v[29:30], v[12:13], v[20:21]
	v_fma_f64 v[10:11], v[29:30], v[14:15], -v[24:25]
	v_add_co_u32_e64 v12, s[0:1], s4, v22
	v_addc_co_u32_e64 v13, s[0:1], v23, v26, s[0:1]
	v_mul_f64 v[4:5], v[4:5], s[2:3]
	v_mul_f64 v[6:7], v[6:7], s[2:3]
	;; [unrolled: 1-line block ×4, first 2 shown]
	global_store_dwordx4 v[12:13], v[0:3], off
	s_nop 0
	v_add_co_u32_e64 v0, s[0:1], s4, v12
	v_addc_co_u32_e64 v1, s[0:1], v13, v26, s[0:1]
	global_store_dwordx4 v[0:1], v[4:7], off
	v_add_co_u32_e64 v0, s[0:1], s4, v0
	v_addc_co_u32_e64 v1, s[0:1], v1, v26, s[0:1]
	global_store_dwordx4 v[0:1], v[8:11], off
	s_and_b64 exec, exec, vcc
	s_cbranch_execz .LBB0_15
; %bb.14:
	global_load_dwordx4 v[2:5], v[92:93], off offset:1584
	ds_read_b128 v[6:9], v94 offset:1584
	ds_read_b128 v[10:13], v94 offset:4176
	s_mul_i32 s6, s9, 0xffffa0f0
	s_movk_i32 s7, 0x1000
	v_mov_b32_e32 v18, s5
	s_waitcnt vmcnt(0) lgkmcnt(1)
	v_mul_f64 v[14:15], v[8:9], v[4:5]
	v_mul_f64 v[4:5], v[6:7], v[4:5]
	v_fma_f64 v[6:7], v[6:7], v[2:3], v[14:15]
	v_fma_f64 v[4:5], v[2:3], v[8:9], -v[4:5]
	v_mov_b32_e32 v8, 0xffffa0f0
	v_mul_f64 v[2:3], v[6:7], s[2:3]
	v_mul_f64 v[4:5], v[4:5], s[2:3]
	v_mad_u64_u32 v[6:7], s[0:1], s8, v8, v[0:1]
	s_sub_i32 s0, s6, s8
	v_add_co_u32_e32 v8, vcc, s7, v92
	v_add_u32_e32 v7, s0, v7
	v_addc_co_u32_e32 v9, vcc, 0, v93, vcc
	global_store_dwordx4 v[6:7], v[2:5], off
	global_load_dwordx4 v[0:3], v[8:9], off offset:80
	s_movk_i32 s0, 0x2000
	s_waitcnt vmcnt(0) lgkmcnt(0)
	v_mul_f64 v[4:5], v[12:13], v[2:3]
	v_mul_f64 v[2:3], v[10:11], v[2:3]
	v_fma_f64 v[4:5], v[10:11], v[0:1], v[4:5]
	v_fma_f64 v[2:3], v[0:1], v[12:13], -v[2:3]
	v_add_co_u32_e32 v12, vcc, s4, v6
	v_addc_co_u32_e32 v13, vcc, v7, v18, vcc
	v_mul_f64 v[0:1], v[4:5], s[2:3]
	v_mul_f64 v[2:3], v[2:3], s[2:3]
	global_store_dwordx4 v[12:13], v[0:3], off
	global_load_dwordx4 v[0:3], v[8:9], off offset:2672
	ds_read_b128 v[4:7], v94 offset:6768
	ds_read_b128 v[8:11], v94 offset:9360
	s_waitcnt vmcnt(0) lgkmcnt(1)
	v_mul_f64 v[14:15], v[6:7], v[2:3]
	v_mul_f64 v[2:3], v[4:5], v[2:3]
	v_fma_f64 v[4:5], v[4:5], v[0:1], v[14:15]
	v_fma_f64 v[2:3], v[0:1], v[6:7], -v[2:3]
	v_mul_f64 v[0:1], v[4:5], s[2:3]
	v_mul_f64 v[2:3], v[2:3], s[2:3]
	v_add_co_u32_e32 v4, vcc, s0, v92
	v_addc_co_u32_e32 v5, vcc, 0, v93, vcc
	v_add_co_u32_e32 v6, vcc, s4, v12
	v_addc_co_u32_e32 v7, vcc, v13, v18, vcc
	global_store_dwordx4 v[6:7], v[0:3], off
	global_load_dwordx4 v[0:3], v[4:5], off offset:1168
	s_movk_i32 s0, 0x3000
	s_waitcnt vmcnt(0) lgkmcnt(0)
	v_mul_f64 v[12:13], v[10:11], v[2:3]
	v_mul_f64 v[2:3], v[8:9], v[2:3]
	v_fma_f64 v[8:9], v[8:9], v[0:1], v[12:13]
	v_fma_f64 v[2:3], v[0:1], v[10:11], -v[2:3]
	v_add_co_u32_e32 v12, vcc, s4, v6
	v_addc_co_u32_e32 v13, vcc, v7, v18, vcc
	v_mul_f64 v[0:1], v[8:9], s[2:3]
	v_mul_f64 v[2:3], v[2:3], s[2:3]
	global_store_dwordx4 v[12:13], v[0:3], off
	global_load_dwordx4 v[0:3], v[4:5], off offset:3760
	ds_read_b128 v[4:7], v94 offset:11952
	ds_read_b128 v[8:11], v94 offset:14544
	s_waitcnt vmcnt(0) lgkmcnt(1)
	v_mul_f64 v[14:15], v[6:7], v[2:3]
	v_mul_f64 v[2:3], v[4:5], v[2:3]
	v_fma_f64 v[4:5], v[4:5], v[0:1], v[14:15]
	v_fma_f64 v[2:3], v[0:1], v[6:7], -v[2:3]
	v_mul_f64 v[0:1], v[4:5], s[2:3]
	v_mul_f64 v[2:3], v[2:3], s[2:3]
	v_add_co_u32_e32 v4, vcc, s0, v92
	v_addc_co_u32_e32 v5, vcc, 0, v93, vcc
	v_add_co_u32_e32 v6, vcc, s4, v12
	v_addc_co_u32_e32 v7, vcc, v13, v18, vcc
	global_store_dwordx4 v[6:7], v[0:3], off
	global_load_dwordx4 v[0:3], v[4:5], off offset:2256
	s_movk_i32 s0, 0x4000
	v_add_co_u32_e32 v12, vcc, s0, v92
	v_addc_co_u32_e32 v13, vcc, 0, v93, vcc
	v_add_co_u32_e32 v14, vcc, s4, v6
	v_addc_co_u32_e32 v15, vcc, v7, v18, vcc
	s_movk_i32 s0, 0x5000
	s_waitcnt vmcnt(0) lgkmcnt(0)
	v_mul_f64 v[4:5], v[10:11], v[2:3]
	v_mul_f64 v[2:3], v[8:9], v[2:3]
	v_fma_f64 v[4:5], v[8:9], v[0:1], v[4:5]
	v_fma_f64 v[2:3], v[0:1], v[10:11], -v[2:3]
	v_mul_f64 v[0:1], v[4:5], s[2:3]
	v_mul_f64 v[2:3], v[2:3], s[2:3]
	global_store_dwordx4 v[14:15], v[0:3], off
	global_load_dwordx4 v[0:3], v[12:13], off offset:752
	ds_read_b128 v[4:7], v94 offset:17136
	ds_read_b128 v[8:11], v94 offset:19728
	s_waitcnt vmcnt(0) lgkmcnt(1)
	v_mul_f64 v[16:17], v[6:7], v[2:3]
	v_mul_f64 v[2:3], v[4:5], v[2:3]
	v_fma_f64 v[4:5], v[4:5], v[0:1], v[16:17]
	v_fma_f64 v[2:3], v[0:1], v[6:7], -v[2:3]
	v_mul_f64 v[0:1], v[4:5], s[2:3]
	v_mul_f64 v[2:3], v[2:3], s[2:3]
	v_add_co_u32_e32 v4, vcc, s4, v14
	v_addc_co_u32_e32 v5, vcc, v15, v18, vcc
	global_store_dwordx4 v[4:5], v[0:3], off
	global_load_dwordx4 v[0:3], v[12:13], off offset:3344
	s_waitcnt vmcnt(0) lgkmcnt(0)
	v_mul_f64 v[6:7], v[10:11], v[2:3]
	v_mul_f64 v[2:3], v[8:9], v[2:3]
	v_fma_f64 v[6:7], v[8:9], v[0:1], v[6:7]
	v_fma_f64 v[2:3], v[0:1], v[10:11], -v[2:3]
	v_mul_f64 v[0:1], v[6:7], s[2:3]
	v_mul_f64 v[2:3], v[2:3], s[2:3]
	v_add_co_u32_e32 v6, vcc, s0, v92
	v_addc_co_u32_e32 v7, vcc, 0, v93, vcc
	v_add_co_u32_e32 v12, vcc, s4, v4
	v_addc_co_u32_e32 v13, vcc, v5, v18, vcc
	global_store_dwordx4 v[12:13], v[0:3], off
	global_load_dwordx4 v[0:3], v[6:7], off offset:1840
	ds_read_b128 v[4:7], v94 offset:22320
	ds_read_b128 v[8:11], v94 offset:24912
	s_movk_i32 s0, 0x6000
	s_waitcnt vmcnt(0) lgkmcnt(1)
	v_mul_f64 v[14:15], v[6:7], v[2:3]
	v_mul_f64 v[2:3], v[4:5], v[2:3]
	v_fma_f64 v[4:5], v[4:5], v[0:1], v[14:15]
	v_fma_f64 v[2:3], v[0:1], v[6:7], -v[2:3]
	v_mul_f64 v[0:1], v[4:5], s[2:3]
	v_mul_f64 v[2:3], v[2:3], s[2:3]
	v_add_co_u32_e32 v4, vcc, s0, v92
	v_addc_co_u32_e32 v5, vcc, 0, v93, vcc
	v_add_co_u32_e32 v6, vcc, s4, v12
	v_addc_co_u32_e32 v7, vcc, v13, v18, vcc
	global_store_dwordx4 v[6:7], v[0:3], off
	global_load_dwordx4 v[0:3], v[4:5], off offset:336
	s_waitcnt vmcnt(0) lgkmcnt(0)
	v_mul_f64 v[12:13], v[10:11], v[2:3]
	v_mul_f64 v[2:3], v[8:9], v[2:3]
	v_fma_f64 v[8:9], v[8:9], v[0:1], v[12:13]
	v_fma_f64 v[2:3], v[0:1], v[10:11], -v[2:3]
	v_mul_f64 v[0:1], v[8:9], s[2:3]
	v_mul_f64 v[2:3], v[2:3], s[2:3]
	v_add_co_u32_e32 v8, vcc, s4, v6
	v_addc_co_u32_e32 v9, vcc, v7, v18, vcc
	global_store_dwordx4 v[8:9], v[0:3], off
	global_load_dwordx4 v[0:3], v[4:5], off offset:2928
	ds_read_b128 v[4:7], v94 offset:27504
	s_waitcnt vmcnt(0) lgkmcnt(0)
	v_mul_f64 v[10:11], v[6:7], v[2:3]
	v_mul_f64 v[2:3], v[4:5], v[2:3]
	v_fma_f64 v[4:5], v[4:5], v[0:1], v[10:11]
	v_fma_f64 v[2:3], v[0:1], v[6:7], -v[2:3]
	v_mul_f64 v[0:1], v[4:5], s[2:3]
	v_mul_f64 v[2:3], v[2:3], s[2:3]
	v_add_co_u32_e32 v4, vcc, s4, v8
	v_addc_co_u32_e32 v5, vcc, v9, v18, vcc
	global_store_dwordx4 v[4:5], v[0:3], off
.LBB0_15:
	s_endpgm
	.section	.rodata,"a",@progbits
	.p2align	6, 0x0
	.amdhsa_kernel bluestein_single_fwd_len1782_dim1_dp_op_CI_CI
		.amdhsa_group_segment_fixed_size 28512
		.amdhsa_private_segment_fixed_size 664
		.amdhsa_kernarg_size 104
		.amdhsa_user_sgpr_count 6
		.amdhsa_user_sgpr_private_segment_buffer 1
		.amdhsa_user_sgpr_dispatch_ptr 0
		.amdhsa_user_sgpr_queue_ptr 0
		.amdhsa_user_sgpr_kernarg_segment_ptr 1
		.amdhsa_user_sgpr_dispatch_id 0
		.amdhsa_user_sgpr_flat_scratch_init 0
		.amdhsa_user_sgpr_private_segment_size 0
		.amdhsa_uses_dynamic_stack 0
		.amdhsa_system_sgpr_private_segment_wavefront_offset 1
		.amdhsa_system_sgpr_workgroup_id_x 1
		.amdhsa_system_sgpr_workgroup_id_y 0
		.amdhsa_system_sgpr_workgroup_id_z 0
		.amdhsa_system_sgpr_workgroup_info 0
		.amdhsa_system_vgpr_workitem_id 0
		.amdhsa_next_free_vgpr 256
		.amdhsa_next_free_sgpr 48
		.amdhsa_reserve_vcc 1
		.amdhsa_reserve_flat_scratch 0
		.amdhsa_float_round_mode_32 0
		.amdhsa_float_round_mode_16_64 0
		.amdhsa_float_denorm_mode_32 3
		.amdhsa_float_denorm_mode_16_64 3
		.amdhsa_dx10_clamp 1
		.amdhsa_ieee_mode 1
		.amdhsa_fp16_overflow 0
		.amdhsa_exception_fp_ieee_invalid_op 0
		.amdhsa_exception_fp_denorm_src 0
		.amdhsa_exception_fp_ieee_div_zero 0
		.amdhsa_exception_fp_ieee_overflow 0
		.amdhsa_exception_fp_ieee_underflow 0
		.amdhsa_exception_fp_ieee_inexact 0
		.amdhsa_exception_int_div_zero 0
	.end_amdhsa_kernel
	.text
.Lfunc_end0:
	.size	bluestein_single_fwd_len1782_dim1_dp_op_CI_CI, .Lfunc_end0-bluestein_single_fwd_len1782_dim1_dp_op_CI_CI
                                        ; -- End function
	.section	.AMDGPU.csdata,"",@progbits
; Kernel info:
; codeLenInByte = 34824
; NumSgprs: 52
; NumVgprs: 256
; ScratchSize: 664
; MemoryBound: 0
; FloatMode: 240
; IeeeMode: 1
; LDSByteSize: 28512 bytes/workgroup (compile time only)
; SGPRBlocks: 6
; VGPRBlocks: 63
; NumSGPRsForWavesPerEU: 52
; NumVGPRsForWavesPerEU: 256
; Occupancy: 1
; WaveLimiterHint : 1
; COMPUTE_PGM_RSRC2:SCRATCH_EN: 1
; COMPUTE_PGM_RSRC2:USER_SGPR: 6
; COMPUTE_PGM_RSRC2:TRAP_HANDLER: 0
; COMPUTE_PGM_RSRC2:TGID_X_EN: 1
; COMPUTE_PGM_RSRC2:TGID_Y_EN: 0
; COMPUTE_PGM_RSRC2:TGID_Z_EN: 0
; COMPUTE_PGM_RSRC2:TIDIG_COMP_CNT: 0
	.type	__hip_cuid_7b6f4e136c6cb2cc,@object ; @__hip_cuid_7b6f4e136c6cb2cc
	.section	.bss,"aw",@nobits
	.globl	__hip_cuid_7b6f4e136c6cb2cc
__hip_cuid_7b6f4e136c6cb2cc:
	.byte	0                               ; 0x0
	.size	__hip_cuid_7b6f4e136c6cb2cc, 1

	.ident	"AMD clang version 19.0.0git (https://github.com/RadeonOpenCompute/llvm-project roc-6.4.0 25133 c7fe45cf4b819c5991fe208aaa96edf142730f1d)"
	.section	".note.GNU-stack","",@progbits
	.addrsig
	.addrsig_sym __hip_cuid_7b6f4e136c6cb2cc
	.amdgpu_metadata
---
amdhsa.kernels:
  - .args:
      - .actual_access:  read_only
        .address_space:  global
        .offset:         0
        .size:           8
        .value_kind:     global_buffer
      - .actual_access:  read_only
        .address_space:  global
        .offset:         8
        .size:           8
        .value_kind:     global_buffer
      - .actual_access:  read_only
        .address_space:  global
        .offset:         16
        .size:           8
        .value_kind:     global_buffer
      - .actual_access:  read_only
        .address_space:  global
        .offset:         24
        .size:           8
        .value_kind:     global_buffer
      - .actual_access:  read_only
        .address_space:  global
        .offset:         32
        .size:           8
        .value_kind:     global_buffer
      - .offset:         40
        .size:           8
        .value_kind:     by_value
      - .address_space:  global
        .offset:         48
        .size:           8
        .value_kind:     global_buffer
      - .address_space:  global
        .offset:         56
        .size:           8
        .value_kind:     global_buffer
      - .address_space:  global
        .offset:         64
        .size:           8
        .value_kind:     global_buffer
      - .address_space:  global
        .offset:         72
        .size:           8
        .value_kind:     global_buffer
      - .offset:         80
        .size:           4
        .value_kind:     by_value
      - .address_space:  global
        .offset:         88
        .size:           8
        .value_kind:     global_buffer
      - .address_space:  global
        .offset:         96
        .size:           8
        .value_kind:     global_buffer
    .group_segment_fixed_size: 28512
    .kernarg_segment_align: 8
    .kernarg_segment_size: 104
    .language:       OpenCL C
    .language_version:
      - 2
      - 0
    .max_flat_workgroup_size: 99
    .name:           bluestein_single_fwd_len1782_dim1_dp_op_CI_CI
    .private_segment_fixed_size: 664
    .sgpr_count:     52
    .sgpr_spill_count: 0
    .symbol:         bluestein_single_fwd_len1782_dim1_dp_op_CI_CI.kd
    .uniform_work_group_size: 1
    .uses_dynamic_stack: false
    .vgpr_count:     256
    .vgpr_spill_count: 181
    .wavefront_size: 64
amdhsa.target:   amdgcn-amd-amdhsa--gfx906
amdhsa.version:
  - 1
  - 2
...

	.end_amdgpu_metadata
